;; amdgpu-corpus repo=ROCm/vllm kind=compiled arch=gfx90a opt=O3
	.text
	.amdgcn_target "amdgcn-amd-amdhsa--gfx90a"
	.amdhsa_code_object_version 6
	.section	.text._Z14LLGemm1_kernelIN3c104HalfELi2EEvPKT_S4_PS2_i,"axG",@progbits,_Z14LLGemm1_kernelIN3c104HalfELi2EEvPKT_S4_PS2_i,comdat
	.protected	_Z14LLGemm1_kernelIN3c104HalfELi2EEvPKT_S4_PS2_i ; -- Begin function _Z14LLGemm1_kernelIN3c104HalfELi2EEvPKT_S4_PS2_i
	.globl	_Z14LLGemm1_kernelIN3c104HalfELi2EEvPKT_S4_PS2_i
	.p2align	8
	.type	_Z14LLGemm1_kernelIN3c104HalfELi2EEvPKT_S4_PS2_i,@function
_Z14LLGemm1_kernelIN3c104HalfELi2EEvPKT_S4_PS2_i: ; @_Z14LLGemm1_kernelIN3c104HalfELi2EEvPKT_S4_PS2_i
; %bb.0:
	s_load_dword s7, s[4:5], 0x18
	s_load_dwordx4 s[0:3], s[4:5], 0x0
	s_load_dwordx2 s[8:9], s[4:5], 0x10
	v_lshlrev_b32_e32 v1, 3, v0
                                        ; implicit-def: $vgpr9
                                        ; implicit-def: $vgpr2
                                        ; implicit-def: $vgpr10
	s_waitcnt lgkmcnt(0)
	v_cmp_gt_i32_e32 vcc, s7, v1
	s_and_saveexec_b64 s[10:11], vcc
	s_cbranch_execz .LBB0_2
; %bb.1:
	s_mul_i32 s12, s6, s7
	s_bfe_u32 s12, s12, 0x1d0002
	v_add_u32_e32 v2, s12, v0
	v_mov_b32_e32 v3, 0
	v_lshlrev_b64 v[2:3], 4, v[2:3]
	v_mov_b32_e32 v1, s1
	v_add_co_u32_e64 v6, s[0:1], s0, v2
	s_lshr_b32 s12, s7, 3
	s_mov_b32 s13, 0
	v_addc_co_u32_e64 v7, s[0:1], v1, v3, s[0:1]
	s_lshl_b64 s[0:1], s[12:13], 4
	v_mov_b32_e32 v1, s1
	v_add_co_u32_e64 v8, s[0:1], s0, v6
	v_addc_co_u32_e64 v9, s[0:1], v7, v1, s[0:1]
	v_lshlrev_b32_e32 v1, 4, v0
	global_load_dwordx4 v[10:13], v[6:7], off glc slc
	global_load_dwordx4 v[2:5], v[8:9], off glc slc
	s_nop 0
	global_load_dwordx4 v[6:9], v1, s[2:3]
.LBB0_2:
	s_or_b64 exec, exec, s[10:11]
	s_waitcnt vmcnt(0)
	v_pk_mul_f16 v2, v6, v2
	v_pk_fma_f16 v2, v3, v7, v2
	v_pk_mul_f16 v1, v6, v10
	v_pk_fma_f16 v2, v4, v8, v2
	v_pk_fma_f16 v1, v11, v7, v1
	;; [unrolled: 1-line block ×3, first 2 shown]
	v_mbcnt_lo_u32_b32 v2, -1, 0
	v_pk_fma_f16 v1, v12, v8, v1
	v_mbcnt_hi_u32_b32 v10, -1, v2
	v_pk_fma_f16 v1, v13, v9, v1
	v_and_b32_e32 v2, 64, v10
	v_add_u32_e32 v11, 64, v2
	v_cvt_f32_f16_e32 v3, v4
	v_cvt_f32_f16_e32 v2, v1
	v_cvt_f32_f16_sdwa v5, v4 dst_sel:DWORD dst_unused:UNUSED_PAD src0_sel:WORD_1
	v_cvt_f32_f16_sdwa v4, v1 dst_sel:DWORD dst_unused:UNUSED_PAD src0_sel:WORD_1
	v_xor_b32_e32 v6, 32, v10
	v_cmp_lt_i32_e64 s[0:1], v6, v11
	v_cndmask_b32_e64 v1, v10, v6, s[0:1]
	v_pk_add_f32 v[2:3], v[2:3], v[4:5]
	v_lshlrev_b32_e32 v1, 2, v1
	v_cndmask_b32_e32 v3, 0, v3, vcc
	v_cndmask_b32_e32 v2, 0, v2, vcc
	ds_bpermute_b32 v4, v1, v2
	ds_bpermute_b32 v5, v1, v3
	v_xor_b32_e32 v1, 16, v10
	v_cmp_lt_i32_e32 vcc, v1, v11
	v_cndmask_b32_e32 v1, v10, v1, vcc
	v_lshlrev_b32_e32 v1, 2, v1
	s_waitcnt lgkmcnt(0)
	v_pk_add_f32 v[2:3], v[2:3], v[4:5]
	ds_bpermute_b32 v6, v1, v2
	ds_bpermute_b32 v7, v1, v3
	v_xor_b32_e32 v4, 8, v10
	v_cmp_lt_i32_e32 vcc, v4, v11
	v_cndmask_b32_e32 v4, v10, v4, vcc
	v_lshlrev_b32_e32 v4, 2, v4
	s_waitcnt lgkmcnt(0)
	v_pk_add_f32 v[2:3], v[2:3], v[6:7]
	;; [unrolled: 8-line block ×5, first 2 shown]
	ds_bpermute_b32 v8, v7, v2
	ds_bpermute_b32 v9, v7, v3
	v_and_b32_e32 v10, 63, v0
	v_cmp_gt_u32_e32 vcc, 2, v10
	s_and_saveexec_b64 s[0:1], vcc
	s_cbranch_execz .LBB0_4
; %bb.3:
	v_lshrrev_b32_e32 v11, 4, v0
	v_cmp_eq_u32_e32 vcc, 1, v10
	v_and_b32_e32 v11, 60, v11
	s_waitcnt lgkmcnt(0)
	v_cndmask_b32_e32 v8, v8, v9, vcc
	v_cndmask_b32_e32 v2, v2, v3, vcc
	v_lshl_or_b32 v11, v10, 8, v11
	v_add_f32_e32 v2, v2, v8
	ds_write_b32 v11, v2
.LBB0_4:
	s_or_b64 exec, exec, s[0:1]
	v_cmp_gt_u32_e32 vcc, 32, v0
	s_waitcnt lgkmcnt(0)
	s_barrier
	s_and_saveexec_b64 s[0:1], vcc
	s_cbranch_execz .LBB0_9
; %bb.5:
	s_load_dword s0, s[4:5], 0x2c
	v_and_b32_e32 v3, 15, v0
	v_mov_b32_e32 v2, 0
	s_waitcnt lgkmcnt(0)
	s_and_b32 s0, 0xffff, s0
	s_lshr_b32 s0, s0, 6
	v_cmp_gt_u32_e32 vcc, s0, v3
	s_and_saveexec_b64 s[0:1], vcc
	s_cbranch_execz .LBB0_7
; %bb.6:
	v_lshlrev_b32_e32 v2, 2, v3
	v_lshlrev_b32_e32 v3, 4, v0
	s_movk_i32 s2, 0x3f00
	v_and_or_b32 v2, v3, s2, v2
	ds_read_b32 v2, v2
.LBB0_7:
	s_or_b64 exec, exec, s[0:1]
	s_waitcnt lgkmcnt(0)
	ds_bpermute_b32 v3, v4, v2
	s_mov_b32 s1, 0
	v_cmp_eq_u32_e32 vcc, 0, v0
	s_waitcnt lgkmcnt(0)
	v_add_f32_e32 v2, v2, v3
	ds_bpermute_b32 v3, v5, v2
	s_waitcnt lgkmcnt(0)
	v_add_f32_e32 v2, v2, v3
	ds_bpermute_b32 v3, v6, v2
	;; [unrolled: 3-line block ×4, first 2 shown]
	s_and_b64 exec, exec, vcc
	s_cbranch_execz .LBB0_9
; %bb.8:
	v_cvt_f16_f32_e32 v0, v2
	s_waitcnt lgkmcnt(0)
	v_cvt_f16_f32_e32 v1, v1
	s_and_b32 s0, s6, 0x7fffffff
	s_lshl_b64 s[0:1], s[0:1], 2
	s_add_u32 s0, s8, s0
	v_pack_b32_f16 v0, v0, v1
	s_addc_u32 s1, s9, s1
	v_mov_b32_e32 v1, 0
	global_store_dword v1, v0, s[0:1]
.LBB0_9:
	s_endpgm
	.section	.rodata,"a",@progbits
	.p2align	6, 0x0
	.amdhsa_kernel _Z14LLGemm1_kernelIN3c104HalfELi2EEvPKT_S4_PS2_i
		.amdhsa_group_segment_fixed_size 512
		.amdhsa_private_segment_fixed_size 0
		.amdhsa_kernarg_size 288
		.amdhsa_user_sgpr_count 6
		.amdhsa_user_sgpr_private_segment_buffer 1
		.amdhsa_user_sgpr_dispatch_ptr 0
		.amdhsa_user_sgpr_queue_ptr 0
		.amdhsa_user_sgpr_kernarg_segment_ptr 1
		.amdhsa_user_sgpr_dispatch_id 0
		.amdhsa_user_sgpr_flat_scratch_init 0
		.amdhsa_user_sgpr_kernarg_preload_length 0
		.amdhsa_user_sgpr_kernarg_preload_offset 0
		.amdhsa_user_sgpr_private_segment_size 0
		.amdhsa_uses_dynamic_stack 0
		.amdhsa_system_sgpr_private_segment_wavefront_offset 0
		.amdhsa_system_sgpr_workgroup_id_x 1
		.amdhsa_system_sgpr_workgroup_id_y 0
		.amdhsa_system_sgpr_workgroup_id_z 0
		.amdhsa_system_sgpr_workgroup_info 0
		.amdhsa_system_vgpr_workitem_id 0
		.amdhsa_next_free_vgpr 14
		.amdhsa_next_free_sgpr 14
		.amdhsa_accum_offset 16
		.amdhsa_reserve_vcc 1
		.amdhsa_reserve_flat_scratch 0
		.amdhsa_float_round_mode_32 0
		.amdhsa_float_round_mode_16_64 0
		.amdhsa_float_denorm_mode_32 3
		.amdhsa_float_denorm_mode_16_64 3
		.amdhsa_dx10_clamp 1
		.amdhsa_ieee_mode 1
		.amdhsa_fp16_overflow 0
		.amdhsa_tg_split 0
		.amdhsa_exception_fp_ieee_invalid_op 0
		.amdhsa_exception_fp_denorm_src 0
		.amdhsa_exception_fp_ieee_div_zero 0
		.amdhsa_exception_fp_ieee_overflow 0
		.amdhsa_exception_fp_ieee_underflow 0
		.amdhsa_exception_fp_ieee_inexact 0
		.amdhsa_exception_int_div_zero 0
	.end_amdhsa_kernel
	.section	.text._Z14LLGemm1_kernelIN3c104HalfELi2EEvPKT_S4_PS2_i,"axG",@progbits,_Z14LLGemm1_kernelIN3c104HalfELi2EEvPKT_S4_PS2_i,comdat
.Lfunc_end0:
	.size	_Z14LLGemm1_kernelIN3c104HalfELi2EEvPKT_S4_PS2_i, .Lfunc_end0-_Z14LLGemm1_kernelIN3c104HalfELi2EEvPKT_S4_PS2_i
                                        ; -- End function
	.section	.AMDGPU.csdata,"",@progbits
; Kernel info:
; codeLenInByte = 860
; NumSgprs: 18
; NumVgprs: 14
; NumAgprs: 0
; TotalNumVgprs: 14
; ScratchSize: 0
; MemoryBound: 0
; FloatMode: 240
; IeeeMode: 1
; LDSByteSize: 512 bytes/workgroup (compile time only)
; SGPRBlocks: 2
; VGPRBlocks: 1
; NumSGPRsForWavesPerEU: 18
; NumVGPRsForWavesPerEU: 14
; AccumOffset: 16
; Occupancy: 8
; WaveLimiterHint : 0
; COMPUTE_PGM_RSRC2:SCRATCH_EN: 0
; COMPUTE_PGM_RSRC2:USER_SGPR: 6
; COMPUTE_PGM_RSRC2:TRAP_HANDLER: 0
; COMPUTE_PGM_RSRC2:TGID_X_EN: 1
; COMPUTE_PGM_RSRC2:TGID_Y_EN: 0
; COMPUTE_PGM_RSRC2:TGID_Z_EN: 0
; COMPUTE_PGM_RSRC2:TIDIG_COMP_CNT: 0
; COMPUTE_PGM_RSRC3_GFX90A:ACCUM_OFFSET: 3
; COMPUTE_PGM_RSRC3_GFX90A:TG_SPLIT: 0
	.section	.text._Z14LLGemm1_kernelIN3c104HalfELi4EEvPKT_S4_PS2_i,"axG",@progbits,_Z14LLGemm1_kernelIN3c104HalfELi4EEvPKT_S4_PS2_i,comdat
	.protected	_Z14LLGemm1_kernelIN3c104HalfELi4EEvPKT_S4_PS2_i ; -- Begin function _Z14LLGemm1_kernelIN3c104HalfELi4EEvPKT_S4_PS2_i
	.globl	_Z14LLGemm1_kernelIN3c104HalfELi4EEvPKT_S4_PS2_i
	.p2align	8
	.type	_Z14LLGemm1_kernelIN3c104HalfELi4EEvPKT_S4_PS2_i,@function
_Z14LLGemm1_kernelIN3c104HalfELi4EEvPKT_S4_PS2_i: ; @_Z14LLGemm1_kernelIN3c104HalfELi4EEvPKT_S4_PS2_i
; %bb.0:
	s_load_dword s0, s[4:5], 0x18
	s_load_dwordx4 s[8:11], s[4:5], 0x0
	s_load_dwordx2 s[12:13], s[4:5], 0x10
	v_lshlrev_b32_e32 v1, 3, v0
                                        ; implicit-def: $vgpr17
                                        ; implicit-def: $vgpr10
                                        ; implicit-def: $vgpr18
                                        ; implicit-def: $vgpr2
                                        ; implicit-def: $vgpr6
	s_waitcnt lgkmcnt(0)
	v_cmp_gt_i32_e32 vcc, s0, v1
	s_and_saveexec_b64 s[2:3], vcc
	s_cbranch_execz .LBB1_2
; %bb.1:
	s_mul_i32 s1, s6, s0
	s_bfe_u32 s1, s1, 0x1d0001
	v_add_u32_e32 v10, s1, v0
	v_mov_b32_e32 v11, 0
	v_lshlrev_b64 v[2:3], 4, v[10:11]
	s_lshr_b32 s14, s0, 3
	v_mov_b32_e32 v1, s9
	v_add_co_u32_e64 v12, s[0:1], s8, v2
	s_mov_b32 s15, 0
	v_addc_co_u32_e64 v13, s[0:1], v1, v3, s[0:1]
	s_lshl_b64 s[0:1], s[14:15], 4
	v_mov_b32_e32 v1, s1
	v_add_co_u32_e64 v14, s[0:1], s0, v12
	v_addc_co_u32_e64 v15, s[0:1], v13, v1, s[0:1]
	s_add_i32 s0, s14, s14
	v_add_u32_e32 v10, s0, v10
	global_load_dwordx4 v[6:9], v[12:13], off glc slc
	global_load_dwordx4 v[2:5], v[14:15], off glc slc
	v_lshlrev_b64 v[12:13], 4, v[10:11]
	v_mov_b32_e32 v1, s9
	v_add_co_u32_e64 v14, s[0:1], s8, v12
	v_add_u32_e32 v10, s14, v10
	v_addc_co_u32_e64 v15, s[0:1], v1, v13, s[0:1]
	v_lshlrev_b64 v[10:11], 4, v[10:11]
	v_add_co_u32_e64 v16, s[0:1], s8, v10
	v_addc_co_u32_e64 v17, s[0:1], v1, v11, s[0:1]
	v_lshlrev_b32_e32 v1, 4, v0
	global_load_dwordx4 v[18:21], v[14:15], off glc slc
	global_load_dwordx4 v[10:13], v[16:17], off glc slc
	s_nop 0
	global_load_dwordx4 v[14:17], v1, s[10:11]
.LBB1_2:
	s_or_b64 exec, exec, s[2:3]
	s_waitcnt vmcnt(0)
	v_pk_mul_f16 v1, v14, v6
	v_pk_fma_f16 v1, v7, v15, v1
	v_pk_fma_f16 v1, v8, v16, v1
	v_pk_fma_f16 v7, v9, v17, v1
	v_pk_mul_f16 v1, v14, v2
	v_pk_fma_f16 v1, v3, v15, v1
	v_pk_fma_f16 v1, v4, v16, v1
	v_pk_fma_f16 v4, v5, v17, v1
	;; [unrolled: 4-line block ×4, first 2 shown]
	v_mbcnt_lo_u32_b32 v1, -1, 0
	v_mbcnt_hi_u32_b32 v14, -1, v1
	v_and_b32_e32 v1, 64, v14
	v_add_u32_e32 v15, 64, v1
	v_xor_b32_e32 v1, 32, v14
	v_cmp_lt_i32_e64 s[0:1], v1, v15
	v_cndmask_b32_e64 v1, v14, v1, s[0:1]
	v_lshlrev_b32_e32 v12, 2, v1
	v_xor_b32_e32 v1, 16, v14
	v_cmp_lt_i32_e64 s[0:1], v1, v15
	v_xor_b32_e32 v2, 8, v14
	v_cndmask_b32_e64 v1, v14, v1, s[0:1]
	v_cmp_lt_i32_e64 s[0:1], v2, v15
	v_cndmask_b32_e64 v2, v14, v2, s[0:1]
	v_lshlrev_b32_e32 v6, 2, v2
	v_cvt_f32_f16_e32 v3, v4
	v_cvt_f32_f16_e32 v2, v7
	v_cvt_f32_f16_sdwa v5, v4 dst_sel:DWORD dst_unused:UNUSED_PAD src0_sel:WORD_1
	v_cvt_f32_f16_sdwa v4, v7 dst_sel:DWORD dst_unused:UNUSED_PAD src0_sel:WORD_1
	v_lshlrev_b32_e32 v1, 2, v1
	v_xor_b32_e32 v7, 4, v14
	v_cmp_lt_i32_e64 s[0:1], v7, v15
	v_pk_add_f32 v[2:3], v[2:3], v[4:5]
	v_cvt_f32_f16_e32 v5, v9
	v_cvt_f32_f16_e32 v4, v8
	v_cvt_f32_f16_sdwa v9, v9 dst_sel:DWORD dst_unused:UNUSED_PAD src0_sel:WORD_1
	v_cvt_f32_f16_sdwa v8, v8 dst_sel:DWORD dst_unused:UNUSED_PAD src0_sel:WORD_1
	v_cndmask_b32_e32 v3, 0, v3, vcc
	v_cndmask_b32_e32 v2, 0, v2, vcc
	ds_bpermute_b32 v10, v12, v2
	v_pk_add_f32 v[4:5], v[4:5], v[8:9]
	v_cndmask_b32_e32 v5, 0, v5, vcc
	v_cndmask_b32_e32 v4, 0, v4, vcc
	ds_bpermute_b32 v11, v12, v3
	ds_bpermute_b32 v8, v12, v4
	;; [unrolled: 1-line block ×3, first 2 shown]
	v_cndmask_b32_e64 v7, v14, v7, s[0:1]
	v_xor_b32_e32 v12, 2, v14
	s_waitcnt lgkmcnt(2)
	v_pk_add_f32 v[2:3], v[2:3], v[10:11]
	ds_bpermute_b32 v10, v1, v2
	s_waitcnt lgkmcnt(1)
	v_pk_add_f32 v[4:5], v[4:5], v[8:9]
	ds_bpermute_b32 v11, v1, v3
	ds_bpermute_b32 v8, v1, v4
	;; [unrolled: 1-line block ×3, first 2 shown]
	v_lshlrev_b32_e32 v7, 2, v7
	v_cmp_lt_i32_e32 vcc, v12, v15
	s_waitcnt lgkmcnt(2)
	v_pk_add_f32 v[2:3], v[2:3], v[10:11]
	ds_bpermute_b32 v10, v6, v2
	s_waitcnt lgkmcnt(1)
	v_pk_add_f32 v[4:5], v[4:5], v[8:9]
	ds_bpermute_b32 v11, v6, v3
	ds_bpermute_b32 v8, v6, v4
	;; [unrolled: 1-line block ×3, first 2 shown]
	v_cndmask_b32_e32 v16, v14, v12, vcc
	s_waitcnt lgkmcnt(2)
	v_pk_add_f32 v[2:3], v[2:3], v[10:11]
	ds_bpermute_b32 v10, v7, v2
	s_waitcnt lgkmcnt(1)
	v_pk_add_f32 v[4:5], v[4:5], v[8:9]
	ds_bpermute_b32 v11, v7, v3
	ds_bpermute_b32 v12, v7, v4
	;; [unrolled: 1-line block ×3, first 2 shown]
	v_lshlrev_b32_e32 v8, 2, v16
	v_xor_b32_e32 v9, 1, v14
	s_waitcnt lgkmcnt(2)
	v_pk_add_f32 v[2:3], v[2:3], v[10:11]
	ds_bpermute_b32 v10, v8, v2
	s_waitcnt lgkmcnt(1)
	v_pk_add_f32 v[4:5], v[4:5], v[12:13]
	ds_bpermute_b32 v11, v8, v3
	ds_bpermute_b32 v12, v8, v4
	;; [unrolled: 1-line block ×3, first 2 shown]
	v_cmp_lt_i32_e32 vcc, v9, v15
	v_cndmask_b32_e32 v9, v14, v9, vcc
	s_waitcnt lgkmcnt(2)
	v_pk_add_f32 v[2:3], v[2:3], v[10:11]
	v_lshlrev_b32_e32 v9, 2, v9
	s_waitcnt lgkmcnt(0)
	v_pk_add_f32 v[4:5], v[4:5], v[12:13]
	ds_bpermute_b32 v11, v9, v2
	ds_bpermute_b32 v14, v9, v3
	;; [unrolled: 1-line block ×4, first 2 shown]
	v_and_b32_e32 v13, 63, v0
	v_cmp_gt_u32_e32 vcc, 4, v13
	s_and_saveexec_b64 s[8:9], vcc
	s_cbranch_execz .LBB1_4
; %bb.3:
	v_cmp_eq_u32_e32 vcc, 1, v13
	s_waitcnt lgkmcnt(2)
	v_cndmask_b32_e32 v11, v11, v14, vcc
	v_cmp_eq_u32_e64 s[0:1], 2, v13
	v_cndmask_b32_e32 v2, v2, v3, vcc
	v_lshrrev_b32_e32 v15, 4, v0
	s_waitcnt lgkmcnt(1)
	v_cndmask_b32_e64 v11, v11, v12, s[0:1]
	v_cmp_eq_u32_e64 s[2:3], 3, v13
	v_cndmask_b32_e64 v2, v2, v4, s[0:1]
	v_and_b32_e32 v15, 60, v15
	s_waitcnt lgkmcnt(0)
	v_cndmask_b32_e64 v10, v11, v10, s[2:3]
	v_cndmask_b32_e64 v2, v2, v5, s[2:3]
	v_lshl_or_b32 v15, v13, 8, v15
	v_add_f32_e32 v2, v2, v10
	ds_write_b32 v15, v2
.LBB1_4:
	s_or_b64 exec, exec, s[8:9]
	v_cmp_gt_u32_e32 vcc, 64, v0
	s_waitcnt lgkmcnt(0)
	s_barrier
	s_and_saveexec_b64 s[0:1], vcc
	s_cbranch_execz .LBB1_9
; %bb.5:
	s_load_dword s0, s[4:5], 0x2c
	v_and_b32_e32 v3, 15, v0
	v_mov_b32_e32 v2, 0
	s_waitcnt lgkmcnt(0)
	s_and_b32 s0, 0xffff, s0
	s_lshr_b32 s0, s0, 6
	v_cmp_gt_u32_e32 vcc, s0, v3
	s_and_saveexec_b64 s[0:1], vcc
	s_cbranch_execz .LBB1_7
; %bb.6:
	v_lshlrev_b32_e32 v2, 2, v3
	v_lshlrev_b32_e32 v3, 4, v0
	s_movk_i32 s2, 0x3f00
	v_and_or_b32 v2, v3, s2, v2
	ds_read_b32 v2, v2
.LBB1_7:
	s_or_b64 exec, exec, s[0:1]
	s_waitcnt lgkmcnt(0)
	ds_bpermute_b32 v3, v6, v2
	s_waitcnt lgkmcnt(0)
	v_add_f32_e32 v2, v2, v3
	ds_bpermute_b32 v3, v7, v2
	s_waitcnt lgkmcnt(0)
	v_add_f32_e32 v2, v2, v3
	;; [unrolled: 3-line block ×4, first 2 shown]
	ds_bpermute_b32 v1, v1, v2
	v_and_b32_e32 v3, 31, v0
	v_cmp_eq_u32_e32 vcc, 0, v3
	s_and_b64 exec, exec, vcc
	s_cbranch_execz .LBB1_9
; %bb.8:
	v_cvt_f16_f32_e32 v2, v2
	s_waitcnt lgkmcnt(0)
	v_cvt_f16_f32_e32 v1, v1
	s_lshl_b32 s0, s6, 1
	s_and_b32 s0, s0, 0x7ffffffe
	v_lshrrev_b32_e32 v0, 5, v0
	v_pack_b32_f16 v2, v2, v1
	v_or_b32_e32 v0, s0, v0
	v_mov_b32_e32 v1, 0
	v_lshlrev_b64 v[0:1], 2, v[0:1]
	v_mov_b32_e32 v3, s13
	v_add_co_u32_e32 v0, vcc, s12, v0
	v_addc_co_u32_e32 v1, vcc, v3, v1, vcc
	global_store_dword v[0:1], v2, off
.LBB1_9:
	s_endpgm
	.section	.rodata,"a",@progbits
	.p2align	6, 0x0
	.amdhsa_kernel _Z14LLGemm1_kernelIN3c104HalfELi4EEvPKT_S4_PS2_i
		.amdhsa_group_segment_fixed_size 1024
		.amdhsa_private_segment_fixed_size 0
		.amdhsa_kernarg_size 288
		.amdhsa_user_sgpr_count 6
		.amdhsa_user_sgpr_private_segment_buffer 1
		.amdhsa_user_sgpr_dispatch_ptr 0
		.amdhsa_user_sgpr_queue_ptr 0
		.amdhsa_user_sgpr_kernarg_segment_ptr 1
		.amdhsa_user_sgpr_dispatch_id 0
		.amdhsa_user_sgpr_flat_scratch_init 0
		.amdhsa_user_sgpr_kernarg_preload_length 0
		.amdhsa_user_sgpr_kernarg_preload_offset 0
		.amdhsa_user_sgpr_private_segment_size 0
		.amdhsa_uses_dynamic_stack 0
		.amdhsa_system_sgpr_private_segment_wavefront_offset 0
		.amdhsa_system_sgpr_workgroup_id_x 1
		.amdhsa_system_sgpr_workgroup_id_y 0
		.amdhsa_system_sgpr_workgroup_id_z 0
		.amdhsa_system_sgpr_workgroup_info 0
		.amdhsa_system_vgpr_workitem_id 0
		.amdhsa_next_free_vgpr 22
		.amdhsa_next_free_sgpr 16
		.amdhsa_accum_offset 24
		.amdhsa_reserve_vcc 1
		.amdhsa_reserve_flat_scratch 0
		.amdhsa_float_round_mode_32 0
		.amdhsa_float_round_mode_16_64 0
		.amdhsa_float_denorm_mode_32 3
		.amdhsa_float_denorm_mode_16_64 3
		.amdhsa_dx10_clamp 1
		.amdhsa_ieee_mode 1
		.amdhsa_fp16_overflow 0
		.amdhsa_tg_split 0
		.amdhsa_exception_fp_ieee_invalid_op 0
		.amdhsa_exception_fp_denorm_src 0
		.amdhsa_exception_fp_ieee_div_zero 0
		.amdhsa_exception_fp_ieee_overflow 0
		.amdhsa_exception_fp_ieee_underflow 0
		.amdhsa_exception_fp_ieee_inexact 0
		.amdhsa_exception_int_div_zero 0
	.end_amdhsa_kernel
	.section	.text._Z14LLGemm1_kernelIN3c104HalfELi4EEvPKT_S4_PS2_i,"axG",@progbits,_Z14LLGemm1_kernelIN3c104HalfELi4EEvPKT_S4_PS2_i,comdat
.Lfunc_end1:
	.size	_Z14LLGemm1_kernelIN3c104HalfELi4EEvPKT_S4_PS2_i, .Lfunc_end1-_Z14LLGemm1_kernelIN3c104HalfELi4EEvPKT_S4_PS2_i
                                        ; -- End function
	.section	.AMDGPU.csdata,"",@progbits
; Kernel info:
; codeLenInByte = 1300
; NumSgprs: 20
; NumVgprs: 22
; NumAgprs: 0
; TotalNumVgprs: 22
; ScratchSize: 0
; MemoryBound: 0
; FloatMode: 240
; IeeeMode: 1
; LDSByteSize: 1024 bytes/workgroup (compile time only)
; SGPRBlocks: 2
; VGPRBlocks: 2
; NumSGPRsForWavesPerEU: 20
; NumVGPRsForWavesPerEU: 22
; AccumOffset: 24
; Occupancy: 8
; WaveLimiterHint : 0
; COMPUTE_PGM_RSRC2:SCRATCH_EN: 0
; COMPUTE_PGM_RSRC2:USER_SGPR: 6
; COMPUTE_PGM_RSRC2:TRAP_HANDLER: 0
; COMPUTE_PGM_RSRC2:TGID_X_EN: 1
; COMPUTE_PGM_RSRC2:TGID_Y_EN: 0
; COMPUTE_PGM_RSRC2:TGID_Z_EN: 0
; COMPUTE_PGM_RSRC2:TIDIG_COMP_CNT: 0
; COMPUTE_PGM_RSRC3_GFX90A:ACCUM_OFFSET: 5
; COMPUTE_PGM_RSRC3_GFX90A:TG_SPLIT: 0
	.section	.text._Z14LLGemm1_kernelIN3c104HalfELi8EEvPKT_S4_PS2_i,"axG",@progbits,_Z14LLGemm1_kernelIN3c104HalfELi8EEvPKT_S4_PS2_i,comdat
	.protected	_Z14LLGemm1_kernelIN3c104HalfELi8EEvPKT_S4_PS2_i ; -- Begin function _Z14LLGemm1_kernelIN3c104HalfELi8EEvPKT_S4_PS2_i
	.globl	_Z14LLGemm1_kernelIN3c104HalfELi8EEvPKT_S4_PS2_i
	.p2align	8
	.type	_Z14LLGemm1_kernelIN3c104HalfELi8EEvPKT_S4_PS2_i,@function
_Z14LLGemm1_kernelIN3c104HalfELi8EEvPKT_S4_PS2_i: ; @_Z14LLGemm1_kernelIN3c104HalfELi8EEvPKT_S4_PS2_i
; %bb.0:
	s_load_dword s0, s[4:5], 0x18
	s_load_dwordx4 s[8:11], s[4:5], 0x0
	s_load_dwordx2 s[2:3], s[4:5], 0x10
	v_lshlrev_b32_e32 v1, 3, v0
                                        ; implicit-def: $vgpr33
                                        ; implicit-def: $vgpr26
                                        ; implicit-def: $vgpr34
                                        ; implicit-def: $vgpr18
                                        ; implicit-def: $vgpr22
                                        ; implicit-def: $vgpr10
                                        ; implicit-def: $vgpr14
                                        ; implicit-def: $vgpr2
                                        ; implicit-def: $vgpr6
	s_waitcnt lgkmcnt(0)
	v_cmp_gt_i32_e32 vcc, s0, v1
	s_and_saveexec_b64 s[12:13], vcc
	s_cbranch_execz .LBB2_2
; %bb.1:
	s_mul_i32 s1, s6, s0
	s_and_b32 s1, s1, 0x1fffffff
	v_add_u32_e32 v26, s1, v0
	v_mov_b32_e32 v27, 0
	v_lshlrev_b64 v[2:3], 4, v[26:27]
	s_lshr_b32 s14, s0, 3
	v_mov_b32_e32 v1, s9
	v_add_co_u32_e64 v10, s[0:1], s8, v2
	s_mov_b32 s15, 0
	v_addc_co_u32_e64 v11, s[0:1], v1, v3, s[0:1]
	s_lshl_b64 s[0:1], s[14:15], 4
	v_mov_b32_e32 v1, s1
	v_add_co_u32_e64 v12, s[0:1], s0, v10
	v_addc_co_u32_e64 v13, s[0:1], v11, v1, s[0:1]
	s_add_i32 s0, s14, s14
	v_add_u32_e32 v26, s0, v26
	global_load_dwordx4 v[6:9], v[10:11], off glc slc
	global_load_dwordx4 v[2:5], v[12:13], off glc slc
	v_lshlrev_b64 v[10:11], 4, v[26:27]
	v_mov_b32_e32 v1, s9
	v_add_co_u32_e64 v18, s[0:1], s8, v10
	v_add_u32_e32 v26, s14, v26
	v_addc_co_u32_e64 v19, s[0:1], v1, v11, s[0:1]
	v_lshlrev_b64 v[10:11], 4, v[26:27]
	v_add_co_u32_e64 v20, s[0:1], s8, v10
	v_add_u32_e32 v26, s14, v26
	v_addc_co_u32_e64 v21, s[0:1], v1, v11, s[0:1]
	global_load_dwordx4 v[14:17], v[18:19], off glc slc
	global_load_dwordx4 v[10:13], v[20:21], off glc slc
	v_lshlrev_b64 v[18:19], 4, v[26:27]
	v_add_co_u32_e64 v28, s[0:1], s8, v18
	v_add_u32_e32 v26, s14, v26
	v_addc_co_u32_e64 v29, s[0:1], v1, v19, s[0:1]
	v_lshlrev_b64 v[18:19], 4, v[26:27]
	v_add_co_u32_e64 v30, s[0:1], s8, v18
	v_add_u32_e32 v26, s14, v26
	v_addc_co_u32_e64 v31, s[0:1], v1, v19, s[0:1]
	global_load_dwordx4 v[22:25], v[28:29], off glc slc
	global_load_dwordx4 v[18:21], v[30:31], off glc slc
	v_lshlrev_b64 v[28:29], 4, v[26:27]
	v_add_co_u32_e64 v30, s[0:1], s8, v28
	v_add_u32_e32 v26, s14, v26
	v_addc_co_u32_e64 v31, s[0:1], v1, v29, s[0:1]
	v_lshlrev_b64 v[26:27], 4, v[26:27]
	v_add_co_u32_e64 v32, s[0:1], s8, v26
	v_addc_co_u32_e64 v33, s[0:1], v1, v27, s[0:1]
	v_lshlrev_b32_e32 v1, 4, v0
	global_load_dwordx4 v[34:37], v[30:31], off glc slc
	global_load_dwordx4 v[26:29], v[32:33], off glc slc
	s_nop 0
	global_load_dwordx4 v[30:33], v1, s[10:11]
.LBB2_2:
	s_or_b64 exec, exec, s[12:13]
	s_waitcnt vmcnt(0)
	v_pk_mul_f16 v1, v30, v6
	v_pk_fma_f16 v1, v7, v31, v1
	v_pk_fma_f16 v1, v8, v32, v1
	v_pk_fma_f16 v6, v9, v33, v1
	v_pk_mul_f16 v1, v30, v2
	v_pk_fma_f16 v1, v3, v31, v1
	v_pk_fma_f16 v1, v4, v32, v1
	v_pk_fma_f16 v4, v5, v33, v1
	;; [unrolled: 4-line block ×8, first 2 shown]
	v_mbcnt_lo_u32_b32 v1, -1, 0
	v_mbcnt_hi_u32_b32 v21, -1, v1
	v_and_b32_e32 v1, 64, v21
	v_add_u32_e32 v24, 64, v1
	v_xor_b32_e32 v1, 32, v21
	v_cmp_lt_i32_e64 s[0:1], v1, v24
	v_cndmask_b32_e64 v1, v21, v1, s[0:1]
	v_lshlrev_b32_e32 v22, 2, v1
	v_xor_b32_e32 v1, 16, v21
	v_cmp_lt_i32_e64 s[0:1], v1, v24
	v_xor_b32_e32 v7, 8, v21
	v_cndmask_b32_e64 v1, v21, v1, s[0:1]
	v_cmp_lt_i32_e64 s[0:1], v7, v24
	v_cvt_f32_f16_e32 v3, v4
	v_cvt_f32_f16_e32 v2, v6
	v_cvt_f32_f16_sdwa v5, v4 dst_sel:DWORD dst_unused:UNUSED_PAD src0_sel:WORD_1
	v_cvt_f32_f16_sdwa v4, v6 dst_sel:DWORD dst_unused:UNUSED_PAD src0_sel:WORD_1
	v_cndmask_b32_e64 v6, v21, v7, s[0:1]
	v_lshlrev_b32_e32 v18, 2, v6
	v_xor_b32_e32 v6, 4, v21
	v_cmp_lt_i32_e64 s[0:1], v6, v24
	v_cndmask_b32_e64 v6, v21, v6, s[0:1]
	v_lshlrev_b32_e32 v19, 2, v6
	v_cvt_f32_f16_e32 v7, v9
	v_cvt_f32_f16_e32 v6, v8
	v_cvt_f32_f16_sdwa v9, v9 dst_sel:DWORD dst_unused:UNUSED_PAD src0_sel:WORD_1
	v_cvt_f32_f16_sdwa v8, v8 dst_sel:DWORD dst_unused:UNUSED_PAD src0_sel:WORD_1
	v_xor_b32_e32 v10, 2, v21
	v_cmp_lt_i32_e64 s[0:1], v10, v24
	v_cndmask_b32_e64 v10, v21, v10, s[0:1]
	v_pk_add_f32 v[6:7], v[6:7], v[8:9]
	v_cndmask_b32_e32 v7, 0, v7, vcc
	v_cndmask_b32_e32 v6, 0, v6, vcc
	ds_bpermute_b32 v8, v22, v6
	ds_bpermute_b32 v9, v22, v7
	v_lshlrev_b32_e32 v1, 2, v1
	v_lshlrev_b32_e32 v20, 2, v10
	v_cvt_f32_f16_e32 v11, v13
	v_cvt_f32_f16_e32 v10, v12
	s_waitcnt lgkmcnt(0)
	v_pk_add_f32 v[6:7], v[6:7], v[8:9]
	v_cvt_f32_f16_sdwa v13, v13 dst_sel:DWORD dst_unused:UNUSED_PAD src0_sel:WORD_1
	v_cvt_f32_f16_sdwa v12, v12 dst_sel:DWORD dst_unused:UNUSED_PAD src0_sel:WORD_1
	ds_bpermute_b32 v8, v1, v6
	ds_bpermute_b32 v9, v1, v7
	v_pk_add_f32 v[2:3], v[2:3], v[4:5]
	v_pk_add_f32 v[10:11], v[10:11], v[12:13]
	v_cvt_f32_f16_e32 v13, v15
	v_cvt_f32_f16_e32 v12, v14
	v_cvt_f32_f16_sdwa v15, v15 dst_sel:DWORD dst_unused:UNUSED_PAD src0_sel:WORD_1
	v_cvt_f32_f16_sdwa v14, v14 dst_sel:DWORD dst_unused:UNUSED_PAD src0_sel:WORD_1
	v_cndmask_b32_e32 v3, 0, v3, vcc
	v_cndmask_b32_e32 v2, 0, v2, vcc
	s_waitcnt lgkmcnt(0)
	v_pk_add_f32 v[6:7], v[6:7], v[8:9]
	v_cndmask_b32_e32 v11, 0, v11, vcc
	v_cndmask_b32_e32 v10, 0, v10, vcc
	ds_bpermute_b32 v4, v22, v2
	ds_bpermute_b32 v5, v22, v3
	;; [unrolled: 1-line block ×6, first 2 shown]
	v_pk_add_f32 v[12:13], v[12:13], v[14:15]
	v_cndmask_b32_e32 v13, 0, v13, vcc
	v_cndmask_b32_e32 v12, 0, v12, vcc
	ds_bpermute_b32 v14, v22, v12
	ds_bpermute_b32 v15, v22, v13
	s_waitcnt lgkmcnt(6)
	v_pk_add_f32 v[2:3], v[2:3], v[4:5]
	s_waitcnt lgkmcnt(4)
	v_pk_add_f32 v[6:7], v[6:7], v[8:9]
	;; [unrolled: 2-line block ×3, first 2 shown]
	ds_bpermute_b32 v4, v1, v2
	ds_bpermute_b32 v5, v1, v3
	;; [unrolled: 1-line block ×6, first 2 shown]
	s_waitcnt lgkmcnt(6)
	v_pk_add_f32 v[12:13], v[12:13], v[14:15]
	ds_bpermute_b32 v14, v1, v12
	ds_bpermute_b32 v15, v1, v13
	s_waitcnt lgkmcnt(6)
	v_pk_add_f32 v[2:3], v[2:3], v[4:5]
	s_waitcnt lgkmcnt(4)
	v_pk_add_f32 v[6:7], v[6:7], v[8:9]
	;; [unrolled: 2-line block ×3, first 2 shown]
	ds_bpermute_b32 v4, v18, v2
	ds_bpermute_b32 v5, v18, v3
	;; [unrolled: 1-line block ×4, first 2 shown]
	s_waitcnt lgkmcnt(4)
	v_pk_add_f32 v[12:13], v[12:13], v[14:15]
	ds_bpermute_b32 v14, v18, v12
	ds_bpermute_b32 v15, v18, v13
	s_waitcnt lgkmcnt(4)
	v_pk_add_f32 v[2:3], v[2:3], v[4:5]
	s_waitcnt lgkmcnt(2)
	v_pk_add_f32 v[8:9], v[8:9], v[10:11]
	ds_bpermute_b32 v4, v19, v2
	ds_bpermute_b32 v5, v19, v3
	;; [unrolled: 1-line block ×4, first 2 shown]
	s_waitcnt lgkmcnt(4)
	v_pk_add_f32 v[12:13], v[12:13], v[14:15]
	ds_bpermute_b32 v14, v19, v12
	ds_bpermute_b32 v15, v19, v13
	s_waitcnt lgkmcnt(4)
	v_pk_add_f32 v[2:3], v[2:3], v[4:5]
	s_waitcnt lgkmcnt(2)
	v_pk_add_f32 v[10:11], v[8:9], v[10:11]
	ds_bpermute_b32 v4, v20, v2
	ds_bpermute_b32 v5, v20, v3
	;; [unrolled: 1-line block ×4, first 2 shown]
	s_waitcnt lgkmcnt(4)
	v_pk_add_f32 v[12:13], v[12:13], v[14:15]
	ds_bpermute_b32 v16, v20, v6
	ds_bpermute_b32 v17, v20, v7
	;; [unrolled: 1-line block ×4, first 2 shown]
	s_waitcnt lgkmcnt(6)
	v_pk_add_f32 v[8:9], v[2:3], v[4:5]
	s_waitcnt lgkmcnt(4)
	v_pk_add_f32 v[2:3], v[10:11], v[22:23]
	v_xor_b32_e32 v10, 1, v21
	v_cmp_lt_i32_e32 vcc, v10, v24
	v_cndmask_b32_e32 v10, v21, v10, vcc
	s_waitcnt lgkmcnt(2)
	v_pk_add_f32 v[4:5], v[6:7], v[16:17]
	s_waitcnt lgkmcnt(0)
	v_pk_add_f32 v[6:7], v[12:13], v[14:15]
	v_lshlrev_b32_e32 v21, 2, v10
	ds_bpermute_b32 v16, v21, v8
	ds_bpermute_b32 v17, v21, v9
	ds_bpermute_b32 v12, v21, v4
	ds_bpermute_b32 v13, v21, v5
	ds_bpermute_b32 v10, v21, v2
	ds_bpermute_b32 v11, v21, v3
	ds_bpermute_b32 v14, v21, v6
	ds_bpermute_b32 v15, v21, v7
	v_and_b32_e32 v22, 63, v0
	v_cmp_gt_u32_e32 vcc, 8, v22
	s_and_saveexec_b64 s[0:1], vcc
	s_cbranch_execz .LBB2_4
; %bb.3:
	s_waitcnt lgkmcnt(6)
	v_pk_add_f32 v[8:9], v[8:9], v[16:17]
	v_cmp_eq_u32_e32 vcc, 1, v22
	s_waitcnt lgkmcnt(4)
	v_pk_add_f32 v[4:5], v[4:5], v[12:13]
	v_cndmask_b32_e32 v8, v8, v9, vcc
	v_cmp_eq_u32_e32 vcc, 2, v22
	v_cndmask_b32_e32 v4, v8, v4, vcc
	v_cmp_eq_u32_e32 vcc, 3, v22
	s_waitcnt lgkmcnt(2)
	v_pk_add_f32 v[2:3], v[2:3], v[10:11]
	v_cndmask_b32_e32 v4, v4, v5, vcc
	v_cmp_eq_u32_e32 vcc, 4, v22
	v_cndmask_b32_e32 v2, v4, v2, vcc
	v_cmp_eq_u32_e32 vcc, 5, v22
	s_waitcnt lgkmcnt(0)
	v_pk_add_f32 v[6:7], v[6:7], v[14:15]
	v_lshrrev_b32_e32 v10, 4, v0
	v_cndmask_b32_e32 v2, v2, v3, vcc
	v_cmp_eq_u32_e32 vcc, 6, v22
	v_and_b32_e32 v10, 60, v10
	v_cndmask_b32_e32 v2, v2, v6, vcc
	v_cmp_eq_u32_e32 vcc, 7, v22
	v_lshl_or_b32 v10, v22, 8, v10
	v_cndmask_b32_e32 v2, v2, v7, vcc
	ds_write_b32 v10, v2
.LBB2_4:
	s_or_b64 exec, exec, s[0:1]
	s_movk_i32 s0, 0x80
	v_cmp_gt_u32_e32 vcc, s0, v0
	s_waitcnt lgkmcnt(0)
	s_barrier
	s_and_saveexec_b64 s[0:1], vcc
	s_cbranch_execz .LBB2_9
; %bb.5:
	s_load_dword s0, s[4:5], 0x2c
	v_and_b32_e32 v3, 15, v0
	v_mov_b32_e32 v2, 0
	s_waitcnt lgkmcnt(0)
	s_and_b32 s0, 0xffff, s0
	s_lshr_b32 s0, s0, 6
	v_cmp_gt_u32_e32 vcc, s0, v3
	s_and_saveexec_b64 s[0:1], vcc
	s_cbranch_execz .LBB2_7
; %bb.6:
	v_lshlrev_b32_e32 v2, 2, v3
	v_lshlrev_b32_e32 v3, 4, v0
	s_movk_i32 s4, 0x3f00
	v_and_or_b32 v2, v3, s4, v2
	ds_read_b32 v2, v2
.LBB2_7:
	s_or_b64 exec, exec, s[0:1]
	s_waitcnt lgkmcnt(0)
	ds_bpermute_b32 v3, v18, v2
	s_waitcnt lgkmcnt(0)
	v_add_f32_e32 v2, v2, v3
	ds_bpermute_b32 v3, v19, v2
	s_waitcnt lgkmcnt(0)
	v_add_f32_e32 v2, v2, v3
	;; [unrolled: 3-line block ×4, first 2 shown]
	ds_bpermute_b32 v1, v1, v2
	v_and_b32_e32 v3, 31, v0
	v_cmp_eq_u32_e32 vcc, 0, v3
	s_and_b64 exec, exec, vcc
	s_cbranch_execz .LBB2_9
; %bb.8:
	v_cvt_f16_f32_e32 v2, v2
	s_waitcnt lgkmcnt(0)
	v_cvt_f16_f32_e32 v1, v1
	s_lshl_b32 s0, s6, 2
	s_and_b32 s0, s0, 0x7ffffffc
	v_lshrrev_b32_e32 v0, 5, v0
	v_pack_b32_f16 v2, v2, v1
	v_or_b32_e32 v0, s0, v0
	v_mov_b32_e32 v1, 0
	v_lshlrev_b64 v[0:1], 2, v[0:1]
	v_mov_b32_e32 v3, s3
	v_add_co_u32_e32 v0, vcc, s2, v0
	v_addc_co_u32_e32 v1, vcc, v3, v1, vcc
	global_store_dword v[0:1], v2, off
.LBB2_9:
	s_endpgm
	.section	.rodata,"a",@progbits
	.p2align	6, 0x0
	.amdhsa_kernel _Z14LLGemm1_kernelIN3c104HalfELi8EEvPKT_S4_PS2_i
		.amdhsa_group_segment_fixed_size 2048
		.amdhsa_private_segment_fixed_size 0
		.amdhsa_kernarg_size 288
		.amdhsa_user_sgpr_count 6
		.amdhsa_user_sgpr_private_segment_buffer 1
		.amdhsa_user_sgpr_dispatch_ptr 0
		.amdhsa_user_sgpr_queue_ptr 0
		.amdhsa_user_sgpr_kernarg_segment_ptr 1
		.amdhsa_user_sgpr_dispatch_id 0
		.amdhsa_user_sgpr_flat_scratch_init 0
		.amdhsa_user_sgpr_kernarg_preload_length 0
		.amdhsa_user_sgpr_kernarg_preload_offset 0
		.amdhsa_user_sgpr_private_segment_size 0
		.amdhsa_uses_dynamic_stack 0
		.amdhsa_system_sgpr_private_segment_wavefront_offset 0
		.amdhsa_system_sgpr_workgroup_id_x 1
		.amdhsa_system_sgpr_workgroup_id_y 0
		.amdhsa_system_sgpr_workgroup_id_z 0
		.amdhsa_system_sgpr_workgroup_info 0
		.amdhsa_system_vgpr_workitem_id 0
		.amdhsa_next_free_vgpr 38
		.amdhsa_next_free_sgpr 16
		.amdhsa_accum_offset 40
		.amdhsa_reserve_vcc 1
		.amdhsa_reserve_flat_scratch 0
		.amdhsa_float_round_mode_32 0
		.amdhsa_float_round_mode_16_64 0
		.amdhsa_float_denorm_mode_32 3
		.amdhsa_float_denorm_mode_16_64 3
		.amdhsa_dx10_clamp 1
		.amdhsa_ieee_mode 1
		.amdhsa_fp16_overflow 0
		.amdhsa_tg_split 0
		.amdhsa_exception_fp_ieee_invalid_op 0
		.amdhsa_exception_fp_denorm_src 0
		.amdhsa_exception_fp_ieee_div_zero 0
		.amdhsa_exception_fp_ieee_overflow 0
		.amdhsa_exception_fp_ieee_underflow 0
		.amdhsa_exception_fp_ieee_inexact 0
		.amdhsa_exception_int_div_zero 0
	.end_amdhsa_kernel
	.section	.text._Z14LLGemm1_kernelIN3c104HalfELi8EEvPKT_S4_PS2_i,"axG",@progbits,_Z14LLGemm1_kernelIN3c104HalfELi8EEvPKT_S4_PS2_i,comdat
.Lfunc_end2:
	.size	_Z14LLGemm1_kernelIN3c104HalfELi8EEvPKT_S4_PS2_i, .Lfunc_end2-_Z14LLGemm1_kernelIN3c104HalfELi8EEvPKT_S4_PS2_i
                                        ; -- End function
	.section	.AMDGPU.csdata,"",@progbits
; Kernel info:
; codeLenInByte = 2004
; NumSgprs: 20
; NumVgprs: 38
; NumAgprs: 0
; TotalNumVgprs: 38
; ScratchSize: 0
; MemoryBound: 0
; FloatMode: 240
; IeeeMode: 1
; LDSByteSize: 2048 bytes/workgroup (compile time only)
; SGPRBlocks: 2
; VGPRBlocks: 4
; NumSGPRsForWavesPerEU: 20
; NumVGPRsForWavesPerEU: 38
; AccumOffset: 40
; Occupancy: 8
; WaveLimiterHint : 0
; COMPUTE_PGM_RSRC2:SCRATCH_EN: 0
; COMPUTE_PGM_RSRC2:USER_SGPR: 6
; COMPUTE_PGM_RSRC2:TRAP_HANDLER: 0
; COMPUTE_PGM_RSRC2:TGID_X_EN: 1
; COMPUTE_PGM_RSRC2:TGID_Y_EN: 0
; COMPUTE_PGM_RSRC2:TGID_Z_EN: 0
; COMPUTE_PGM_RSRC2:TIDIG_COMP_CNT: 0
; COMPUTE_PGM_RSRC3_GFX90A:ACCUM_OFFSET: 9
; COMPUTE_PGM_RSRC3_GFX90A:TG_SPLIT: 0
	.section	.text._Z14LLGemm1_kernelIN3c104HalfELi16EEvPKT_S4_PS2_i,"axG",@progbits,_Z14LLGemm1_kernelIN3c104HalfELi16EEvPKT_S4_PS2_i,comdat
	.protected	_Z14LLGemm1_kernelIN3c104HalfELi16EEvPKT_S4_PS2_i ; -- Begin function _Z14LLGemm1_kernelIN3c104HalfELi16EEvPKT_S4_PS2_i
	.globl	_Z14LLGemm1_kernelIN3c104HalfELi16EEvPKT_S4_PS2_i
	.p2align	8
	.type	_Z14LLGemm1_kernelIN3c104HalfELi16EEvPKT_S4_PS2_i,@function
_Z14LLGemm1_kernelIN3c104HalfELi16EEvPKT_S4_PS2_i: ; @_Z14LLGemm1_kernelIN3c104HalfELi16EEvPKT_S4_PS2_i
; %bb.0:
	s_load_dword s7, s[4:5], 0x18
	s_load_dwordx4 s[8:11], s[4:5], 0x0
	s_load_dwordx2 s[2:3], s[4:5], 0x10
	v_lshlrev_b32_e32 v1, 3, v0
                                        ; implicit-def: $vgpr37
                                        ; implicit-def: $vgpr38
                                        ; implicit-def: $vgpr42
                                        ; implicit-def: $vgpr46
                                        ; implicit-def: $vgpr50
                                        ; implicit-def: $vgpr54
                                        ; implicit-def: $vgpr58
                                        ; implicit-def: $vgpr62
                                        ; implicit-def: $vgpr66
                                        ; implicit-def: $vgpr26
                                        ; implicit-def: $vgpr30
                                        ; implicit-def: $vgpr18
                                        ; implicit-def: $vgpr22
                                        ; implicit-def: $vgpr10
                                        ; implicit-def: $vgpr14
                                        ; implicit-def: $vgpr2
                                        ; implicit-def: $vgpr6
	s_waitcnt lgkmcnt(0)
	v_cmp_gt_i32_e32 vcc, s7, v1
	s_and_saveexec_b64 s[12:13], vcc
	s_cbranch_execz .LBB3_2
; %bb.1:
	s_mul_i32 s0, s6, s7
	s_lshl_b32 s0, s0, 1
	s_and_b32 s0, s0, 0x1ffffffe
	v_add_u32_e32 v34, s0, v0
	v_mov_b32_e32 v35, 0
	v_lshlrev_b64 v[2:3], 4, v[34:35]
	v_mov_b32_e32 v1, s9
	v_add_co_u32_e64 v10, s[0:1], s8, v2
	s_lshr_b32 s14, s7, 3
	s_mov_b32 s15, 0
	v_addc_co_u32_e64 v11, s[0:1], v1, v3, s[0:1]
	s_lshl_b64 s[0:1], s[14:15], 4
	v_mov_b32_e32 v1, s1
	v_add_co_u32_e64 v12, s[0:1], s0, v10
	v_addc_co_u32_e64 v13, s[0:1], v11, v1, s[0:1]
	s_add_i32 s0, s14, s14
	global_load_dwordx4 v[6:9], v[10:11], off glc slc
	global_load_dwordx4 v[2:5], v[12:13], off glc slc
	v_add_u32_e32 v10, s0, v34
	v_mov_b32_e32 v11, v35
	v_lshlrev_b64 v[12:13], 4, v[10:11]
	v_mov_b32_e32 v1, s9
	v_add_co_u32_e64 v18, s[0:1], s8, v12
	v_add_u32_e32 v20, s14, v10
	v_mov_b32_e32 v21, v35
	v_addc_co_u32_e64 v19, s[0:1], v1, v13, s[0:1]
	v_lshlrev_b64 v[10:11], 4, v[20:21]
	v_add_co_u32_e64 v22, s[0:1], s8, v10
	v_addc_co_u32_e64 v23, s[0:1], v1, v11, s[0:1]
	global_load_dwordx4 v[14:17], v[18:19], off glc slc
	global_load_dwordx4 v[10:13], v[22:23], off glc slc
	v_add_u32_e32 v18, s14, v20
	v_mov_b32_e32 v19, v35
	v_lshlrev_b64 v[20:21], 4, v[18:19]
	v_add_co_u32_e64 v26, s[0:1], s8, v20
	v_add_u32_e32 v28, s14, v18
	v_mov_b32_e32 v29, v35
	v_addc_co_u32_e64 v27, s[0:1], v1, v21, s[0:1]
	v_lshlrev_b64 v[18:19], 4, v[28:29]
	v_add_co_u32_e64 v30, s[0:1], s8, v18
	v_addc_co_u32_e64 v31, s[0:1], v1, v19, s[0:1]
	global_load_dwordx4 v[22:25], v[26:27], off glc slc
	global_load_dwordx4 v[18:21], v[30:31], off glc slc
	v_add_u32_e32 v26, s14, v28
	v_mov_b32_e32 v27, v35
	v_lshlrev_b64 v[28:29], 4, v[26:27]
	v_add_co_u32_e64 v36, s[0:1], s8, v28
	v_add_u32_e32 v38, s14, v26
	v_mov_b32_e32 v39, v35
	v_addc_co_u32_e64 v37, s[0:1], v1, v29, s[0:1]
	v_lshlrev_b64 v[26:27], 4, v[38:39]
	v_add_co_u32_e64 v40, s[0:1], s8, v26
	v_addc_co_u32_e64 v41, s[0:1], v1, v27, s[0:1]
	s_and_b32 s0, s7, -8
	v_add_u32_e32 v34, s0, v34
	global_load_dwordx4 v[30:33], v[36:37], off glc slc
	global_load_dwordx4 v[26:29], v[40:41], off glc slc
	v_lshlrev_b64 v[36:37], 4, v[34:35]
	v_add_co_u32_e64 v36, s[0:1], s8, v36
	v_lshl_add_u32 v34, s14, 1, v38
	v_addc_co_u32_e64 v37, s[0:1], v1, v37, s[0:1]
	v_lshlrev_b64 v[38:39], 4, v[34:35]
	v_add_co_u32_e64 v38, s[0:1], s8, v38
	v_add_u32_e32 v34, s14, v34
	v_addc_co_u32_e64 v39, s[0:1], v1, v39, s[0:1]
	v_lshlrev_b64 v[40:41], 4, v[34:35]
	v_add_co_u32_e64 v40, s[0:1], s8, v40
	v_add_u32_e32 v34, s14, v34
	;; [unrolled: 4-line block ×6, first 2 shown]
	v_addc_co_u32_e64 v71, s[0:1], v1, v49, s[0:1]
	v_lshlrev_b64 v[34:35], 4, v[34:35]
	v_add_co_u32_e64 v34, s[0:1], s8, v34
	v_addc_co_u32_e64 v35, s[0:1], v1, v35, s[0:1]
	global_load_dwordx4 v[66:69], v[36:37], off glc slc
	global_load_dwordx4 v[62:65], v[38:39], off glc slc
	v_lshlrev_b32_e32 v1, 4, v0
	global_load_dwordx4 v[58:61], v[40:41], off glc slc
	global_load_dwordx4 v[54:57], v[42:43], off glc slc
                                        ; kill: killed $vgpr42 killed $vgpr43
                                        ; kill: killed $vgpr40 killed $vgpr41
	global_load_dwordx4 v[50:53], v[44:45], off glc slc
	s_nop 0
	global_load_dwordx4 v[46:49], v[46:47], off glc slc
	s_nop 0
	global_load_dwordx4 v[42:45], v[70:71], off glc slc
	global_load_dwordx4 v[38:41], v[34:35], off glc slc
	s_nop 0
	global_load_dwordx4 v[34:37], v1, s[10:11]
.LBB3_2:
	s_or_b64 exec, exec, s[12:13]
	s_waitcnt vmcnt(0)
	v_pk_mul_f16 v2, v34, v2
	v_pk_fma_f16 v2, v3, v35, v2
	v_pk_fma_f16 v2, v4, v36, v2
	v_pk_fma_f16 v4, v5, v37, v2
	v_pk_mul_f16 v2, v34, v14
	v_pk_fma_f16 v2, v15, v35, v2
	v_pk_fma_f16 v2, v16, v36, v2
	v_pk_fma_f16 v15, v17, v37, v2
	;; [unrolled: 4-line block ×13, first 2 shown]
	v_pk_mul_f16 v2, v34, v42
	v_pk_mul_f16 v1, v34, v6
	v_pk_fma_f16 v2, v43, v35, v2
	v_pk_fma_f16 v1, v7, v35, v1
	v_pk_fma_f16 v2, v44, v36, v2
	v_pk_fma_f16 v1, v8, v36, v1
	v_pk_fma_f16 v8, v45, v37, v2
	v_pk_mul_f16 v2, v34, v38
	v_pk_fma_f16 v2, v39, v35, v2
	v_pk_fma_f16 v2, v40, v36, v2
	;; [unrolled: 1-line block ×3, first 2 shown]
	v_mbcnt_lo_u32_b32 v2, -1, 0
	v_mbcnt_hi_u32_b32 v18, -1, v2
	v_and_b32_e32 v2, 64, v18
	v_add_u32_e32 v19, 64, v2
	v_xor_b32_e32 v2, 32, v18
	v_cmp_lt_i32_e64 s[0:1], v2, v19
	v_xor_b32_e32 v6, 16, v18
	v_pk_fma_f16 v1, v9, v37, v1
	v_cndmask_b32_e64 v2, v18, v2, s[0:1]
	v_cmp_lt_i32_e64 s[0:1], v6, v19
	v_lshlrev_b32_e32 v9, 2, v2
	v_cvt_f32_f16_e32 v3, v4
	v_cvt_f32_f16_e32 v2, v1
	v_cvt_f32_f16_sdwa v5, v4 dst_sel:DWORD dst_unused:UNUSED_PAD src0_sel:WORD_1
	v_cvt_f32_f16_sdwa v4, v1 dst_sel:DWORD dst_unused:UNUSED_PAD src0_sel:WORD_1
	v_cndmask_b32_e64 v1, v18, v6, s[0:1]
	v_xor_b32_e32 v6, 8, v18
	v_cmp_lt_i32_e64 s[0:1], v6, v19
	v_cndmask_b32_e64 v6, v18, v6, s[0:1]
	v_lshlrev_b32_e32 v34, 2, v6
	v_xor_b32_e32 v6, 4, v18
	v_pk_add_f32 v[2:3], v[2:3], v[4:5]
	v_cmp_lt_i32_e64 s[0:1], v6, v19
	v_cndmask_b32_e32 v3, 0, v3, vcc
	v_cndmask_b32_e32 v2, 0, v2, vcc
	v_cndmask_b32_e64 v6, v18, v6, s[0:1]
	ds_bpermute_b32 v4, v9, v2
	ds_bpermute_b32 v5, v9, v3
	v_lshlrev_b32_e32 v35, 2, v6
	v_cvt_f32_f16_e32 v7, v16
	v_cvt_f32_f16_e32 v6, v15
	v_cvt_f32_f16_sdwa v17, v16 dst_sel:DWORD dst_unused:UNUSED_PAD src0_sel:WORD_1
	v_cvt_f32_f16_sdwa v16, v15 dst_sel:DWORD dst_unused:UNUSED_PAD src0_sel:WORD_1
	v_lshlrev_b32_e32 v1, 2, v1
	s_waitcnt lgkmcnt(0)
	v_pk_add_f32 v[2:3], v[2:3], v[4:5]
	ds_bpermute_b32 v4, v1, v2
	v_pk_add_f32 v[6:7], v[6:7], v[16:17]
	v_cndmask_b32_e32 v7, 0, v7, vcc
	v_cndmask_b32_e32 v6, 0, v6, vcc
	ds_bpermute_b32 v5, v1, v3
	ds_bpermute_b32 v16, v9, v6
	;; [unrolled: 1-line block ×3, first 2 shown]
	v_xor_b32_e32 v20, 2, v18
	v_cmp_lt_i32_e64 s[0:1], v20, v19
	s_waitcnt lgkmcnt(2)
	v_pk_add_f32 v[2:3], v[2:3], v[4:5]
	ds_bpermute_b32 v4, v34, v2
	s_waitcnt lgkmcnt(1)
	v_pk_add_f32 v[6:7], v[6:7], v[16:17]
	ds_bpermute_b32 v5, v34, v3
	v_cndmask_b32_e64 v15, v18, v20, s[0:1]
	ds_bpermute_b32 v16, v1, v6
	ds_bpermute_b32 v17, v1, v7
	v_cvt_f32_f16_e32 v21, v23
	v_cvt_f32_f16_e32 v20, v22
	v_cvt_f32_f16_sdwa v23, v23 dst_sel:DWORD dst_unused:UNUSED_PAD src0_sel:WORD_1
	v_cvt_f32_f16_sdwa v22, v22 dst_sel:DWORD dst_unused:UNUSED_PAD src0_sel:WORD_1
	s_waitcnt lgkmcnt(2)
	v_pk_add_f32 v[2:3], v[2:3], v[4:5]
	s_waitcnt lgkmcnt(0)
	v_pk_add_f32 v[6:7], v[6:7], v[16:17]
	ds_bpermute_b32 v4, v35, v2
	v_pk_add_f32 v[20:21], v[20:21], v[22:23]
	v_cndmask_b32_e32 v21, 0, v21, vcc
	v_cndmask_b32_e32 v20, 0, v20, vcc
	ds_bpermute_b32 v5, v35, v3
	ds_bpermute_b32 v16, v34, v6
	;; [unrolled: 1-line block ×5, first 2 shown]
	v_lshlrev_b32_e32 v36, 2, v15
	s_waitcnt lgkmcnt(4)
	v_pk_add_f32 v[2:3], v[2:3], v[4:5]
	s_waitcnt lgkmcnt(2)
	v_pk_add_f32 v[6:7], v[6:7], v[16:17]
	ds_bpermute_b32 v4, v36, v2
	s_waitcnt lgkmcnt(1)
	v_pk_add_f32 v[20:21], v[20:21], v[22:23]
	ds_bpermute_b32 v5, v36, v3
	ds_bpermute_b32 v16, v35, v6
	;; [unrolled: 1-line block ×5, first 2 shown]
	s_waitcnt lgkmcnt(4)
	v_pk_add_f32 v[2:3], v[2:3], v[4:5]
	v_cvt_f32_f16_sdwa v15, v14 dst_sel:DWORD dst_unused:UNUSED_PAD src0_sel:WORD_1
	s_waitcnt lgkmcnt(2)
	v_pk_add_f32 v[4:5], v[6:7], v[16:17]
	ds_bpermute_b32 v6, v36, v4
	s_waitcnt lgkmcnt(1)
	v_pk_add_f32 v[16:17], v[20:21], v[22:23]
	ds_bpermute_b32 v20, v34, v16
	ds_bpermute_b32 v21, v34, v17
	v_cvt_f32_f16_e32 v23, v25
	v_cvt_f32_f16_e32 v22, v24
	v_cvt_f32_f16_sdwa v25, v25 dst_sel:DWORD dst_unused:UNUSED_PAD src0_sel:WORD_1
	v_cvt_f32_f16_sdwa v24, v24 dst_sel:DWORD dst_unused:UNUSED_PAD src0_sel:WORD_1
	s_waitcnt lgkmcnt(0)
	v_pk_add_f32 v[16:17], v[16:17], v[20:21]
	ds_bpermute_b32 v7, v36, v5
	ds_bpermute_b32 v20, v35, v16
	v_pk_add_f32 v[22:23], v[22:23], v[24:25]
	v_cndmask_b32_e32 v23, 0, v23, vcc
	v_cndmask_b32_e32 v22, 0, v22, vcc
	ds_bpermute_b32 v21, v35, v17
	ds_bpermute_b32 v24, v9, v22
	;; [unrolled: 1-line block ×3, first 2 shown]
	s_waitcnt lgkmcnt(4)
	v_pk_add_f32 v[4:5], v[4:5], v[6:7]
	v_cvt_f32_f16_e32 v29, v12
	s_waitcnt lgkmcnt(2)
	v_pk_add_f32 v[6:7], v[16:17], v[20:21]
	ds_bpermute_b32 v16, v36, v6
	s_waitcnt lgkmcnt(1)
	v_pk_add_f32 v[20:21], v[22:23], v[24:25]
	ds_bpermute_b32 v22, v1, v20
	ds_bpermute_b32 v23, v1, v21
	v_cvt_f32_f16_e32 v25, v27
	v_cvt_f32_f16_e32 v24, v26
	v_cvt_f32_f16_sdwa v27, v27 dst_sel:DWORD dst_unused:UNUSED_PAD src0_sel:WORD_1
	v_cvt_f32_f16_sdwa v26, v26 dst_sel:DWORD dst_unused:UNUSED_PAD src0_sel:WORD_1
	s_waitcnt lgkmcnt(0)
	v_pk_add_f32 v[20:21], v[20:21], v[22:23]
	ds_bpermute_b32 v17, v36, v7
	ds_bpermute_b32 v22, v34, v20
	v_pk_add_f32 v[24:25], v[24:25], v[26:27]
	v_cndmask_b32_e32 v25, 0, v25, vcc
	v_cndmask_b32_e32 v24, 0, v24, vcc
	ds_bpermute_b32 v23, v34, v21
	ds_bpermute_b32 v26, v9, v24
	;; [unrolled: 1-line block ×3, first 2 shown]
	s_waitcnt lgkmcnt(4)
	v_pk_add_f32 v[6:7], v[6:7], v[16:17]
	v_cvt_f32_f16_e32 v28, v11
	s_waitcnt lgkmcnt(2)
	v_pk_add_f32 v[16:17], v[20:21], v[22:23]
	ds_bpermute_b32 v20, v35, v16
	s_waitcnt lgkmcnt(1)
	v_pk_add_f32 v[22:23], v[24:25], v[26:27]
	v_cvt_f32_f16_e32 v27, v14
	v_cvt_f32_f16_e32 v26, v13
	v_cvt_f32_f16_sdwa v14, v13 dst_sel:DWORD dst_unused:UNUSED_PAD src0_sel:WORD_1
	ds_bpermute_b32 v24, v1, v22
	ds_bpermute_b32 v25, v1, v23
	;; [unrolled: 1-line block ×3, first 2 shown]
	v_pk_add_f32 v[14:15], v[26:27], v[14:15]
	v_cndmask_b32_e32 v15, 0, v15, vcc
	v_cndmask_b32_e32 v14, 0, v14, vcc
	s_waitcnt lgkmcnt(1)
	v_pk_add_f32 v[22:23], v[22:23], v[24:25]
	ds_bpermute_b32 v26, v9, v14
	ds_bpermute_b32 v27, v9, v15
	;; [unrolled: 1-line block ×4, first 2 shown]
	v_cvt_f32_f16_sdwa v13, v12 dst_sel:DWORD dst_unused:UNUSED_PAD src0_sel:WORD_1
	v_cvt_f32_f16_sdwa v12, v11 dst_sel:DWORD dst_unused:UNUSED_PAD src0_sel:WORD_1
	s_waitcnt lgkmcnt(2)
	v_pk_add_f32 v[14:15], v[14:15], v[26:27]
	v_cvt_f32_f16_sdwa v31, v10 dst_sel:DWORD dst_unused:UNUSED_PAD src0_sel:WORD_1
	v_cvt_f32_f16_sdwa v30, v8 dst_sel:DWORD dst_unused:UNUSED_PAD src0_sel:WORD_1
	v_pk_add_f32 v[12:13], v[28:29], v[12:13]
	v_cvt_f32_f16_e32 v29, v10
	v_cvt_f32_f16_e32 v28, v8
	v_pk_add_f32 v[16:17], v[16:17], v[20:21]
	s_waitcnt lgkmcnt(0)
	v_pk_add_f32 v[20:21], v[22:23], v[24:25]
	ds_bpermute_b32 v24, v1, v14
	ds_bpermute_b32 v25, v1, v15
	v_pk_add_f32 v[28:29], v[28:29], v[30:31]
	v_cndmask_b32_e32 v11, 0, v13, vcc
	v_cndmask_b32_e32 v10, 0, v12, vcc
	;; [unrolled: 1-line block ×4, first 2 shown]
	s_waitcnt lgkmcnt(0)
	v_pk_add_f32 v[14:15], v[14:15], v[24:25]
	ds_bpermute_b32 v12, v9, v10
	ds_bpermute_b32 v13, v9, v11
	;; [unrolled: 1-line block ×6, first 2 shown]
	s_waitcnt lgkmcnt(4)
	v_pk_add_f32 v[10:11], v[10:11], v[12:13]
	ds_bpermute_b32 v12, v1, v10
	s_waitcnt lgkmcnt(3)
	v_pk_add_f32 v[8:9], v[28:29], v[8:9]
	ds_bpermute_b32 v13, v1, v11
	;; [unrolled: 3-line block ×3, first 2 shown]
	ds_bpermute_b32 v29, v1, v9
	ds_bpermute_b32 v24, v35, v14
	;; [unrolled: 1-line block ×3, first 2 shown]
	s_waitcnt lgkmcnt(4)
	v_pk_add_f32 v[10:11], v[10:11], v[12:13]
	ds_bpermute_b32 v12, v34, v10
	s_waitcnt lgkmcnt(3)
	v_pk_add_f32 v[8:9], v[8:9], v[28:29]
	ds_bpermute_b32 v13, v34, v11
	;; [unrolled: 3-line block ×3, first 2 shown]
	ds_bpermute_b32 v15, v34, v9
	ds_bpermute_b32 v22, v35, v20
	;; [unrolled: 1-line block ×3, first 2 shown]
	s_waitcnt lgkmcnt(4)
	v_pk_add_f32 v[10:11], v[10:11], v[12:13]
	ds_bpermute_b32 v12, v35, v10
	s_waitcnt lgkmcnt(3)
	v_pk_add_f32 v[8:9], v[8:9], v[14:15]
	ds_bpermute_b32 v13, v35, v11
	ds_bpermute_b32 v14, v35, v8
	;; [unrolled: 1-line block ×3, first 2 shown]
	s_waitcnt lgkmcnt(4)
	v_pk_add_f32 v[20:21], v[20:21], v[22:23]
	ds_bpermute_b32 v22, v36, v20
	ds_bpermute_b32 v23, v36, v21
	s_waitcnt lgkmcnt(4)
	v_pk_add_f32 v[12:13], v[10:11], v[12:13]
	s_waitcnt lgkmcnt(2)
	v_pk_add_f32 v[32:33], v[8:9], v[14:15]
	ds_bpermute_b32 v26, v36, v16
	ds_bpermute_b32 v27, v36, v17
	;; [unrolled: 1-line block ×8, first 2 shown]
	s_waitcnt lgkmcnt(8)
	v_pk_add_f32 v[14:15], v[20:21], v[22:23]
	v_xor_b32_e32 v20, 1, v18
	v_cmp_lt_i32_e32 vcc, v20, v19
	v_cndmask_b32_e32 v18, v18, v20, vcc
	s_waitcnt lgkmcnt(6)
	v_pk_add_f32 v[16:17], v[16:17], v[26:27]
	s_waitcnt lgkmcnt(4)
	v_pk_add_f32 v[10:11], v[24:25], v[28:29]
	;; [unrolled: 2-line block ×4, first 2 shown]
	v_lshlrev_b32_e32 v37, 2, v18
	ds_bpermute_b32 v32, v37, v2
	ds_bpermute_b32 v33, v37, v3
	;; [unrolled: 1-line block ×16, first 2 shown]
	v_and_b32_e32 v38, 63, v0
	v_cmp_gt_u32_e32 vcc, 16, v38
	s_and_saveexec_b64 s[0:1], vcc
	s_cbranch_execz .LBB3_4
; %bb.3:
	s_waitcnt lgkmcnt(14)
	v_pk_add_f32 v[2:3], v[2:3], v[32:33]
	v_cmp_eq_u32_e32 vcc, 1, v38
	s_waitcnt lgkmcnt(12)
	v_pk_add_f32 v[4:5], v[4:5], v[30:31]
	v_cndmask_b32_e32 v2, v2, v3, vcc
	v_cmp_eq_u32_e32 vcc, 2, v38
	v_cndmask_b32_e32 v2, v2, v4, vcc
	v_cmp_eq_u32_e32 vcc, 3, v38
	s_waitcnt lgkmcnt(10)
	v_pk_add_f32 v[6:7], v[6:7], v[28:29]
	v_cndmask_b32_e32 v2, v2, v5, vcc
	v_cmp_eq_u32_e32 vcc, 4, v38
	v_cndmask_b32_e32 v2, v2, v6, vcc
	;; [unrolled: 6-line block ×6, first 2 shown]
	v_cmp_eq_u32_e32 vcc, 13, v38
	s_waitcnt lgkmcnt(0)
	v_pk_add_f32 v[12:13], v[12:13], v[22:23]
	v_lshrrev_b32_e32 v18, 4, v0
	v_cndmask_b32_e32 v2, v2, v9, vcc
	v_cmp_eq_u32_e32 vcc, 14, v38
	v_and_b32_e32 v18, 60, v18
	v_cndmask_b32_e32 v2, v2, v12, vcc
	v_cmp_eq_u32_e32 vcc, 15, v38
	v_lshl_or_b32 v18, v38, 8, v18
	v_cndmask_b32_e32 v2, v2, v13, vcc
	ds_write_b32 v18, v2
.LBB3_4:
	s_or_b64 exec, exec, s[0:1]
	s_movk_i32 s0, 0x100
	v_cmp_gt_u32_e32 vcc, s0, v0
	s_waitcnt lgkmcnt(0)
	s_barrier
	s_and_saveexec_b64 s[0:1], vcc
	s_cbranch_execz .LBB3_9
; %bb.5:
	s_load_dword s0, s[4:5], 0x2c
	v_and_b32_e32 v3, 15, v0
	v_mov_b32_e32 v2, 0
	s_waitcnt lgkmcnt(0)
	s_and_b32 s0, 0xffff, s0
	s_lshr_b32 s0, s0, 6
	v_cmp_gt_u32_e32 vcc, s0, v3
	s_and_saveexec_b64 s[0:1], vcc
	s_cbranch_execz .LBB3_7
; %bb.6:
	v_lshlrev_b32_e32 v2, 2, v3
	v_lshlrev_b32_e32 v3, 4, v0
	s_movk_i32 s4, 0x3f00
	v_and_or_b32 v2, v3, s4, v2
	ds_read_b32 v2, v2
.LBB3_7:
	s_or_b64 exec, exec, s[0:1]
	s_waitcnt lgkmcnt(0)
	ds_bpermute_b32 v3, v34, v2
	s_waitcnt lgkmcnt(0)
	v_add_f32_e32 v2, v2, v3
	ds_bpermute_b32 v3, v35, v2
	s_waitcnt lgkmcnt(0)
	v_add_f32_e32 v2, v2, v3
	;; [unrolled: 3-line block ×4, first 2 shown]
	ds_bpermute_b32 v1, v1, v2
	v_and_b32_e32 v3, 31, v0
	v_cmp_eq_u32_e32 vcc, 0, v3
	s_and_b64 exec, exec, vcc
	s_cbranch_execz .LBB3_9
; %bb.8:
	v_cvt_f16_f32_e32 v2, v2
	s_waitcnt lgkmcnt(0)
	v_cvt_f16_f32_e32 v1, v1
	s_lshl_b32 s0, s6, 3
	s_and_b32 s0, s0, 0x7ffffff8
	v_lshrrev_b32_e32 v0, 5, v0
	v_pack_b32_f16 v2, v2, v1
	v_or_b32_e32 v0, s0, v0
	v_mov_b32_e32 v1, 0
	v_lshlrev_b64 v[0:1], 2, v[0:1]
	v_mov_b32_e32 v3, s3
	v_add_co_u32_e32 v0, vcc, s2, v0
	v_addc_co_u32_e32 v1, vcc, v3, v1, vcc
	global_store_dword v[0:1], v2, off
.LBB3_9:
	s_endpgm
	.section	.rodata,"a",@progbits
	.p2align	6, 0x0
	.amdhsa_kernel _Z14LLGemm1_kernelIN3c104HalfELi16EEvPKT_S4_PS2_i
		.amdhsa_group_segment_fixed_size 4096
		.amdhsa_private_segment_fixed_size 0
		.amdhsa_kernarg_size 288
		.amdhsa_user_sgpr_count 6
		.amdhsa_user_sgpr_private_segment_buffer 1
		.amdhsa_user_sgpr_dispatch_ptr 0
		.amdhsa_user_sgpr_queue_ptr 0
		.amdhsa_user_sgpr_kernarg_segment_ptr 1
		.amdhsa_user_sgpr_dispatch_id 0
		.amdhsa_user_sgpr_flat_scratch_init 0
		.amdhsa_user_sgpr_kernarg_preload_length 0
		.amdhsa_user_sgpr_kernarg_preload_offset 0
		.amdhsa_user_sgpr_private_segment_size 0
		.amdhsa_uses_dynamic_stack 0
		.amdhsa_system_sgpr_private_segment_wavefront_offset 0
		.amdhsa_system_sgpr_workgroup_id_x 1
		.amdhsa_system_sgpr_workgroup_id_y 0
		.amdhsa_system_sgpr_workgroup_id_z 0
		.amdhsa_system_sgpr_workgroup_info 0
		.amdhsa_system_vgpr_workitem_id 0
		.amdhsa_next_free_vgpr 72
		.amdhsa_next_free_sgpr 16
		.amdhsa_accum_offset 72
		.amdhsa_reserve_vcc 1
		.amdhsa_reserve_flat_scratch 0
		.amdhsa_float_round_mode_32 0
		.amdhsa_float_round_mode_16_64 0
		.amdhsa_float_denorm_mode_32 3
		.amdhsa_float_denorm_mode_16_64 3
		.amdhsa_dx10_clamp 1
		.amdhsa_ieee_mode 1
		.amdhsa_fp16_overflow 0
		.amdhsa_tg_split 0
		.amdhsa_exception_fp_ieee_invalid_op 0
		.amdhsa_exception_fp_denorm_src 0
		.amdhsa_exception_fp_ieee_div_zero 0
		.amdhsa_exception_fp_ieee_overflow 0
		.amdhsa_exception_fp_ieee_underflow 0
		.amdhsa_exception_fp_ieee_inexact 0
		.amdhsa_exception_int_div_zero 0
	.end_amdhsa_kernel
	.section	.text._Z14LLGemm1_kernelIN3c104HalfELi16EEvPKT_S4_PS2_i,"axG",@progbits,_Z14LLGemm1_kernelIN3c104HalfELi16EEvPKT_S4_PS2_i,comdat
.Lfunc_end3:
	.size	_Z14LLGemm1_kernelIN3c104HalfELi16EEvPKT_S4_PS2_i, .Lfunc_end3-_Z14LLGemm1_kernelIN3c104HalfELi16EEvPKT_S4_PS2_i
                                        ; -- End function
	.section	.AMDGPU.csdata,"",@progbits
; Kernel info:
; codeLenInByte = 3484
; NumSgprs: 20
; NumVgprs: 72
; NumAgprs: 0
; TotalNumVgprs: 72
; ScratchSize: 0
; MemoryBound: 0
; FloatMode: 240
; IeeeMode: 1
; LDSByteSize: 4096 bytes/workgroup (compile time only)
; SGPRBlocks: 2
; VGPRBlocks: 8
; NumSGPRsForWavesPerEU: 20
; NumVGPRsForWavesPerEU: 72
; AccumOffset: 72
; Occupancy: 7
; WaveLimiterHint : 0
; COMPUTE_PGM_RSRC2:SCRATCH_EN: 0
; COMPUTE_PGM_RSRC2:USER_SGPR: 6
; COMPUTE_PGM_RSRC2:TRAP_HANDLER: 0
; COMPUTE_PGM_RSRC2:TGID_X_EN: 1
; COMPUTE_PGM_RSRC2:TGID_Y_EN: 0
; COMPUTE_PGM_RSRC2:TGID_Z_EN: 0
; COMPUTE_PGM_RSRC2:TIDIG_COMP_CNT: 0
; COMPUTE_PGM_RSRC3_GFX90A:ACCUM_OFFSET: 17
; COMPUTE_PGM_RSRC3_GFX90A:TG_SPLIT: 0
	.section	.text._Z14LLGemm1_kernelIN3c108BFloat16ELi2EEvPKT_S4_PS2_i,"axG",@progbits,_Z14LLGemm1_kernelIN3c108BFloat16ELi2EEvPKT_S4_PS2_i,comdat
	.protected	_Z14LLGemm1_kernelIN3c108BFloat16ELi2EEvPKT_S4_PS2_i ; -- Begin function _Z14LLGemm1_kernelIN3c108BFloat16ELi2EEvPKT_S4_PS2_i
	.globl	_Z14LLGemm1_kernelIN3c108BFloat16ELi2EEvPKT_S4_PS2_i
	.p2align	8
	.type	_Z14LLGemm1_kernelIN3c108BFloat16ELi2EEvPKT_S4_PS2_i,@function
_Z14LLGemm1_kernelIN3c108BFloat16ELi2EEvPKT_S4_PS2_i: ; @_Z14LLGemm1_kernelIN3c108BFloat16ELi2EEvPKT_S4_PS2_i
; %bb.0:
	s_load_dword s7, s[4:5], 0x18
	s_load_dwordx4 s[0:3], s[4:5], 0x0
	s_load_dwordx2 s[8:9], s[4:5], 0x10
	v_lshlrev_b32_e32 v1, 3, v0
	s_mov_b32 s13, 0
	s_waitcnt lgkmcnt(0)
	v_cmp_gt_i32_e32 vcc, s7, v1
	v_mov_b32_e32 v10, 0
	v_mov_b32_e32 v1, 0
	;; [unrolled: 1-line block ×8, first 2 shown]
                                        ; implicit-def: $vgpr2
                                        ; implicit-def: $vgpr6
	s_and_saveexec_b64 s[10:11], vcc
	s_cbranch_execz .LBB4_2
; %bb.1:
	s_mul_i32 s12, s6, s7
	s_bfe_u32 s12, s12, 0x1d0002
	v_add_u32_e32 v2, s12, v0
	v_mov_b32_e32 v3, 0
	v_lshlrev_b64 v[2:3], 4, v[2:3]
	v_mov_b32_e32 v1, s1
	v_add_co_u32_e64 v10, s[0:1], s0, v2
	s_lshr_b32 s12, s7, 3
	v_addc_co_u32_e64 v11, s[0:1], v1, v3, s[0:1]
	v_lshlrev_b32_e32 v1, 4, v0
	s_lshl_b64 s[0:1], s[12:13], 4
	global_load_dwordx4 v[16:19], v1, s[2:3]
	v_mov_b32_e32 v1, s1
	v_add_co_u32_e64 v12, s[0:1], s0, v10
	v_addc_co_u32_e64 v13, s[0:1], v11, v1, s[0:1]
	global_load_dwordx4 v[6:9], v[10:11], off glc slc
	global_load_dwordx4 v[2:5], v[12:13], off glc slc
	s_waitcnt vmcnt(2)
	v_and_b32_e32 v15, 0xffff0000, v16
	v_lshlrev_b32_e32 v16, 16, v16
	v_and_b32_e32 v13, 0xffff0000, v17
	v_lshlrev_b32_e32 v14, 16, v17
	;; [unrolled: 2-line block ×4, first 2 shown]
.LBB4_2:
	s_or_b64 exec, exec, s[10:11]
	s_waitcnt vmcnt(1)
	v_lshlrev_b32_e32 v17, 16, v6
	v_mul_f32_e32 v18, v16, v17
	s_mov_b32 s0, 0x7f800000
	v_and_b32_e32 v17, 0x7f800000, v18
	v_cmp_ne_u32_e64 s[0:1], s0, v17
                                        ; implicit-def: $vgpr17
	s_and_saveexec_b64 s[2:3], s[0:1]
	s_xor_b64 s[0:1], exec, s[2:3]
; %bb.3:
	v_bfe_u32 v17, v18, 16, 1
	s_movk_i32 s2, 0x7fff
	v_add3_u32 v17, v18, v17, s2
                                        ; implicit-def: $vgpr18
; %bb.4:
	s_andn2_saveexec_b64 s[2:3], s[0:1]
; %bb.5:
	v_mov_b32_e32 v17, 0
	v_or_b32_e32 v19, 0x10000, v18
	v_cmp_eq_u32_sdwa s[0:1], v18, v17 src0_sel:WORD_0 src1_sel:DWORD
	v_cndmask_b32_e64 v17, v19, v18, s[0:1]
; %bb.6:
	s_or_b64 exec, exec, s[2:3]
	v_and_b32_e32 v6, 0xffff0000, v6
	v_mul_f32_e32 v18, v15, v6
	s_mov_b32 s0, 0x7f800000
	v_and_b32_e32 v6, 0x7f800000, v18
	v_cmp_ne_u32_e64 s[0:1], s0, v6
                                        ; implicit-def: $vgpr6
	s_and_saveexec_b64 s[2:3], s[0:1]
	s_xor_b64 s[0:1], exec, s[2:3]
; %bb.7:
	v_bfe_u32 v6, v18, 16, 1
	s_movk_i32 s2, 0x7fff
	v_add3_u32 v6, v18, v6, s2
                                        ; implicit-def: $vgpr18
; %bb.8:
	s_andn2_saveexec_b64 s[2:3], s[0:1]
; %bb.9:
	v_mov_b32_e32 v6, 0
	v_or_b32_e32 v19, 0x10000, v18
	v_cmp_eq_u32_sdwa s[0:1], v18, v6 src0_sel:WORD_0 src1_sel:DWORD
	v_cndmask_b32_e64 v6, v19, v18, s[0:1]
; %bb.10:
	s_or_b64 exec, exec, s[2:3]
	v_and_b32_e32 v18, 0xffff0000, v17
	v_lshlrev_b32_e32 v17, 16, v7
	v_fmac_f32_e32 v18, v17, v14
	s_mov_b32 s0, 0x7f800000
	v_and_b32_e32 v17, 0x7f800000, v18
	v_cmp_ne_u32_e64 s[0:1], s0, v17
                                        ; implicit-def: $vgpr17
	s_and_saveexec_b64 s[2:3], s[0:1]
	s_xor_b64 s[0:1], exec, s[2:3]
; %bb.11:
	v_bfe_u32 v17, v18, 16, 1
	s_movk_i32 s2, 0x7fff
	v_add3_u32 v17, v18, v17, s2
                                        ; implicit-def: $vgpr18
; %bb.12:
	s_andn2_saveexec_b64 s[2:3], s[0:1]
; %bb.13:
	v_mov_b32_e32 v17, 0
	v_or_b32_e32 v19, 0x10000, v18
	v_cmp_eq_u32_sdwa s[0:1], v18, v17 src0_sel:WORD_0 src1_sel:DWORD
	v_cndmask_b32_e64 v17, v19, v18, s[0:1]
; %bb.14:
	s_or_b64 exec, exec, s[2:3]
	v_and_b32_e32 v18, 0xffff0000, v6
	v_and_b32_e32 v6, 0xffff0000, v7
	v_fmac_f32_e32 v18, v6, v13
	s_mov_b32 s0, 0x7f800000
	v_and_b32_e32 v6, 0x7f800000, v18
	v_cmp_ne_u32_e64 s[0:1], s0, v6
                                        ; implicit-def: $vgpr6
	s_and_saveexec_b64 s[2:3], s[0:1]
	s_xor_b64 s[0:1], exec, s[2:3]
; %bb.15:
	v_bfe_u32 v6, v18, 16, 1
	s_movk_i32 s2, 0x7fff
	v_add3_u32 v6, v18, v6, s2
                                        ; implicit-def: $vgpr18
; %bb.16:
	s_andn2_saveexec_b64 s[2:3], s[0:1]
; %bb.17:
	v_mov_b32_e32 v6, 0
	v_or_b32_e32 v7, 0x10000, v18
	v_cmp_eq_u32_sdwa s[0:1], v18, v6 src0_sel:WORD_0 src1_sel:DWORD
	v_cndmask_b32_e64 v6, v7, v18, s[0:1]
; %bb.18:
	s_or_b64 exec, exec, s[2:3]
	v_and_b32_e32 v17, 0xffff0000, v17
	v_lshlrev_b32_e32 v7, 16, v8
	v_fmac_f32_e32 v17, v7, v12
	s_mov_b32 s0, 0x7f800000
	v_and_b32_e32 v7, 0x7f800000, v17
	v_cmp_ne_u32_e64 s[0:1], s0, v7
                                        ; implicit-def: $vgpr7
	s_and_saveexec_b64 s[2:3], s[0:1]
	s_xor_b64 s[0:1], exec, s[2:3]
; %bb.19:
	v_bfe_u32 v7, v17, 16, 1
	s_movk_i32 s2, 0x7fff
	v_add3_u32 v7, v17, v7, s2
                                        ; implicit-def: $vgpr17
; %bb.20:
	s_andn2_saveexec_b64 s[2:3], s[0:1]
; %bb.21:
	v_mov_b32_e32 v7, 0
	v_or_b32_e32 v18, 0x10000, v17
	v_cmp_eq_u32_sdwa s[0:1], v17, v7 src0_sel:WORD_0 src1_sel:DWORD
	v_cndmask_b32_e64 v7, v18, v17, s[0:1]
; %bb.22:
	s_or_b64 exec, exec, s[2:3]
	v_and_b32_e32 v6, 0xffff0000, v6
	v_and_b32_e32 v8, 0xffff0000, v8
	v_fmac_f32_e32 v6, v8, v11
	s_mov_b32 s0, 0x7f800000
	v_and_b32_e32 v8, 0x7f800000, v6
	v_cmp_ne_u32_e64 s[0:1], s0, v8
                                        ; implicit-def: $vgpr8
	s_and_saveexec_b64 s[2:3], s[0:1]
	s_xor_b64 s[0:1], exec, s[2:3]
; %bb.23:
	v_bfe_u32 v8, v6, 16, 1
	s_movk_i32 s2, 0x7fff
	v_add3_u32 v8, v6, v8, s2
                                        ; implicit-def: $vgpr6
; %bb.24:
	s_andn2_saveexec_b64 s[2:3], s[0:1]
; %bb.25:
	v_mov_b32_e32 v8, 0
	v_or_b32_e32 v17, 0x10000, v6
	v_cmp_eq_u32_sdwa s[0:1], v6, v8 src0_sel:WORD_0 src1_sel:DWORD
	v_cndmask_b32_e64 v8, v17, v6, s[0:1]
; %bb.26:
	s_or_b64 exec, exec, s[2:3]
	v_and_b32_e32 v7, 0xffff0000, v7
	v_lshlrev_b32_e32 v6, 16, v9
	v_fmac_f32_e32 v7, v6, v10
	s_mov_b32 s0, 0x7f800000
	v_and_b32_e32 v6, 0x7f800000, v7
	v_cmp_ne_u32_e64 s[0:1], s0, v6
                                        ; implicit-def: $vgpr6
	s_and_saveexec_b64 s[2:3], s[0:1]
	s_xor_b64 s[0:1], exec, s[2:3]
; %bb.27:
	v_bfe_u32 v6, v7, 16, 1
	s_movk_i32 s2, 0x7fff
	v_add3_u32 v6, v7, v6, s2
                                        ; implicit-def: $vgpr7
; %bb.28:
	s_andn2_saveexec_b64 s[2:3], s[0:1]
; %bb.29:
	v_mov_b32_e32 v6, 0
	v_or_b32_e32 v17, 0x10000, v7
	v_cmp_eq_u32_sdwa s[0:1], v7, v6 src0_sel:WORD_0 src1_sel:DWORD
	v_cndmask_b32_e64 v6, v17, v7, s[0:1]
; %bb.30:
	s_or_b64 exec, exec, s[2:3]
	v_and_b32_e32 v8, 0xffff0000, v8
	v_and_b32_e32 v7, 0xffff0000, v9
	v_fmac_f32_e32 v8, v7, v1
	s_mov_b32 s0, 0x7f800000
	v_and_b32_e32 v7, 0x7f800000, v8
	v_cmp_ne_u32_e64 s[0:1], s0, v7
                                        ; implicit-def: $vgpr7
	s_and_saveexec_b64 s[2:3], s[0:1]
	s_xor_b64 s[0:1], exec, s[2:3]
; %bb.31:
	v_bfe_u32 v7, v8, 16, 1
	s_movk_i32 s2, 0x7fff
	v_add3_u32 v7, v8, v7, s2
                                        ; implicit-def: $vgpr8
; %bb.32:
	s_andn2_saveexec_b64 s[2:3], s[0:1]
; %bb.33:
	v_mov_b32_e32 v7, 0
	v_or_b32_e32 v9, 0x10000, v8
	v_cmp_eq_u32_sdwa s[0:1], v8, v7 src0_sel:WORD_0 src1_sel:DWORD
	v_cndmask_b32_e64 v7, v9, v8, s[0:1]
; %bb.34:
	s_or_b64 exec, exec, s[2:3]
	s_waitcnt vmcnt(0)
	v_lshlrev_b32_e32 v8, 16, v2
	v_mul_f32_e32 v9, v16, v8
	s_mov_b32 s0, 0x7f800000
	v_and_b32_e32 v8, 0x7f800000, v9
	v_cmp_ne_u32_e64 s[0:1], s0, v8
                                        ; implicit-def: $vgpr8
	s_and_saveexec_b64 s[2:3], s[0:1]
	s_xor_b64 s[0:1], exec, s[2:3]
; %bb.35:
	v_bfe_u32 v8, v9, 16, 1
	s_movk_i32 s2, 0x7fff
	v_add3_u32 v8, v9, v8, s2
                                        ; implicit-def: $vgpr9
; %bb.36:
	s_andn2_saveexec_b64 s[2:3], s[0:1]
; %bb.37:
	v_mov_b32_e32 v8, 0
	v_or_b32_e32 v16, 0x10000, v9
	v_cmp_eq_u32_sdwa s[0:1], v9, v8 src0_sel:WORD_0 src1_sel:DWORD
	v_cndmask_b32_e64 v8, v16, v9, s[0:1]
; %bb.38:
	s_or_b64 exec, exec, s[2:3]
	v_and_b32_e32 v2, 0xffff0000, v2
	v_mul_f32_e32 v9, v15, v2
	s_mov_b32 s0, 0x7f800000
	v_and_b32_e32 v2, 0x7f800000, v9
	v_cmp_ne_u32_e64 s[0:1], s0, v2
                                        ; implicit-def: $vgpr2
	s_and_saveexec_b64 s[2:3], s[0:1]
	s_xor_b64 s[0:1], exec, s[2:3]
; %bb.39:
	v_bfe_u32 v2, v9, 16, 1
	s_movk_i32 s2, 0x7fff
	v_add3_u32 v2, v9, v2, s2
                                        ; implicit-def: $vgpr9
; %bb.40:
	s_andn2_saveexec_b64 s[2:3], s[0:1]
; %bb.41:
	v_mov_b32_e32 v2, 0
	v_or_b32_e32 v15, 0x10000, v9
	v_cmp_eq_u32_sdwa s[0:1], v9, v2 src0_sel:WORD_0 src1_sel:DWORD
	v_cndmask_b32_e64 v2, v15, v9, s[0:1]
; %bb.42:
	s_or_b64 exec, exec, s[2:3]
	v_and_b32_e32 v9, 0xffff0000, v8
	v_lshlrev_b32_e32 v8, 16, v3
	v_fmac_f32_e32 v9, v8, v14
	s_mov_b32 s0, 0x7f800000
	v_and_b32_e32 v8, 0x7f800000, v9
	v_cmp_ne_u32_e64 s[0:1], s0, v8
                                        ; implicit-def: $vgpr8
	s_and_saveexec_b64 s[2:3], s[0:1]
	s_xor_b64 s[0:1], exec, s[2:3]
; %bb.43:
	v_bfe_u32 v8, v9, 16, 1
	s_movk_i32 s2, 0x7fff
	v_add3_u32 v8, v9, v8, s2
                                        ; implicit-def: $vgpr9
; %bb.44:
	s_andn2_saveexec_b64 s[2:3], s[0:1]
; %bb.45:
	v_mov_b32_e32 v8, 0
	v_or_b32_e32 v14, 0x10000, v9
	v_cmp_eq_u32_sdwa s[0:1], v9, v8 src0_sel:WORD_0 src1_sel:DWORD
	v_cndmask_b32_e64 v8, v14, v9, s[0:1]
; %bb.46:
	s_or_b64 exec, exec, s[2:3]
	v_and_b32_e32 v9, 0xffff0000, v2
	v_and_b32_e32 v2, 0xffff0000, v3
	v_fmac_f32_e32 v9, v2, v13
	s_mov_b32 s0, 0x7f800000
	v_and_b32_e32 v2, 0x7f800000, v9
	v_cmp_ne_u32_e64 s[0:1], s0, v2
                                        ; implicit-def: $vgpr2
	s_and_saveexec_b64 s[2:3], s[0:1]
	s_xor_b64 s[0:1], exec, s[2:3]
; %bb.47:
	v_bfe_u32 v2, v9, 16, 1
	s_movk_i32 s2, 0x7fff
	v_add3_u32 v2, v9, v2, s2
                                        ; implicit-def: $vgpr9
; %bb.48:
	s_andn2_saveexec_b64 s[2:3], s[0:1]
; %bb.49:
	v_mov_b32_e32 v2, 0
	v_or_b32_e32 v3, 0x10000, v9
	v_cmp_eq_u32_sdwa s[0:1], v9, v2 src0_sel:WORD_0 src1_sel:DWORD
	v_cndmask_b32_e64 v2, v3, v9, s[0:1]
; %bb.50:
	s_or_b64 exec, exec, s[2:3]
	v_and_b32_e32 v8, 0xffff0000, v8
	v_lshlrev_b32_e32 v3, 16, v4
	v_fmac_f32_e32 v8, v3, v12
	s_mov_b32 s0, 0x7f800000
	v_and_b32_e32 v3, 0x7f800000, v8
	v_cmp_ne_u32_e64 s[0:1], s0, v3
                                        ; implicit-def: $vgpr3
	s_and_saveexec_b64 s[2:3], s[0:1]
	s_xor_b64 s[0:1], exec, s[2:3]
; %bb.51:
	v_bfe_u32 v3, v8, 16, 1
	s_movk_i32 s2, 0x7fff
	v_add3_u32 v3, v8, v3, s2
                                        ; implicit-def: $vgpr8
; %bb.52:
	s_andn2_saveexec_b64 s[2:3], s[0:1]
; %bb.53:
	v_mov_b32_e32 v3, 0
	v_or_b32_e32 v9, 0x10000, v8
	v_cmp_eq_u32_sdwa s[0:1], v8, v3 src0_sel:WORD_0 src1_sel:DWORD
	v_cndmask_b32_e64 v3, v9, v8, s[0:1]
; %bb.54:
	s_or_b64 exec, exec, s[2:3]
	v_and_b32_e32 v2, 0xffff0000, v2
	v_and_b32_e32 v4, 0xffff0000, v4
	v_fmac_f32_e32 v2, v4, v11
	s_mov_b32 s0, 0x7f800000
	v_and_b32_e32 v4, 0x7f800000, v2
	v_cmp_ne_u32_e64 s[0:1], s0, v4
                                        ; implicit-def: $vgpr4
	s_and_saveexec_b64 s[2:3], s[0:1]
	s_xor_b64 s[0:1], exec, s[2:3]
; %bb.55:
	v_bfe_u32 v4, v2, 16, 1
	s_movk_i32 s2, 0x7fff
	v_add3_u32 v4, v2, v4, s2
                                        ; implicit-def: $vgpr2
; %bb.56:
	s_andn2_saveexec_b64 s[2:3], s[0:1]
; %bb.57:
	v_mov_b32_e32 v4, 0
	v_or_b32_e32 v8, 0x10000, v2
	v_cmp_eq_u32_sdwa s[0:1], v2, v4 src0_sel:WORD_0 src1_sel:DWORD
	v_cndmask_b32_e64 v4, v8, v2, s[0:1]
; %bb.58:
	s_or_b64 exec, exec, s[2:3]
	v_and_b32_e32 v3, 0xffff0000, v3
	v_lshlrev_b32_e32 v2, 16, v5
	v_fmac_f32_e32 v3, v2, v10
	s_mov_b32 s0, 0x7f800000
	v_and_b32_e32 v2, 0x7f800000, v3
	v_cmp_ne_u32_e64 s[0:1], s0, v2
                                        ; implicit-def: $vgpr2
	s_and_saveexec_b64 s[2:3], s[0:1]
	s_xor_b64 s[0:1], exec, s[2:3]
; %bb.59:
	v_bfe_u32 v2, v3, 16, 1
	s_movk_i32 s2, 0x7fff
	v_add3_u32 v2, v3, v2, s2
                                        ; implicit-def: $vgpr3
; %bb.60:
	s_andn2_saveexec_b64 s[2:3], s[0:1]
; %bb.61:
	v_mov_b32_e32 v2, 0
	v_or_b32_e32 v8, 0x10000, v3
	v_cmp_eq_u32_sdwa s[0:1], v3, v2 src0_sel:WORD_0 src1_sel:DWORD
	v_cndmask_b32_e64 v2, v8, v3, s[0:1]
; %bb.62:
	s_or_b64 exec, exec, s[2:3]
	v_and_b32_e32 v3, 0xffff0000, v4
	v_and_b32_e32 v4, 0xffff0000, v5
	v_fmac_f32_e32 v3, v4, v1
	s_mov_b32 s0, 0x7f800000
	v_and_b32_e32 v1, 0x7f800000, v3
	v_cmp_ne_u32_e64 s[0:1], s0, v1
                                        ; implicit-def: $vgpr1
	s_and_saveexec_b64 s[2:3], s[0:1]
	s_xor_b64 s[0:1], exec, s[2:3]
; %bb.63:
	v_bfe_u32 v1, v3, 16, 1
	s_movk_i32 s2, 0x7fff
	v_add3_u32 v1, v3, v1, s2
                                        ; implicit-def: $vgpr3
; %bb.64:
	s_andn2_saveexec_b64 s[2:3], s[0:1]
; %bb.65:
	v_mov_b32_e32 v1, 0
	v_or_b32_e32 v4, 0x10000, v3
	v_cmp_eq_u32_sdwa s[0:1], v3, v1 src0_sel:WORD_0 src1_sel:DWORD
	v_cndmask_b32_e64 v1, v4, v3, s[0:1]
; %bb.66:
	s_or_b64 exec, exec, s[2:3]
	v_and_b32_e32 v3, 0xffff0000, v6
	v_and_b32_e32 v4, 0xffff0000, v7
	v_add_f32_e32 v3, v3, v4
	v_cndmask_b32_e32 v4, 0, v3, vcc
	v_and_b32_e32 v3, 0xffff0000, v1
	v_mbcnt_lo_u32_b32 v1, -1, 0
	v_mbcnt_hi_u32_b32 v10, -1, v1
	v_and_b32_e32 v2, 0xffff0000, v2
	v_mov_b32_e32 v6, v3
	v_and_b32_e32 v1, 64, v10
	v_pk_add_f32 v[2:3], v[6:7], v[2:3] op_sel_hi:[0,1]
	v_add_u32_e32 v11, 64, v1
	v_xor_b32_e32 v1, 32, v10
	v_cndmask_b32_e32 v5, 0, v2, vcc
	v_cmp_lt_i32_e32 vcc, v1, v11
	v_cndmask_b32_e32 v1, v10, v1, vcc
	v_lshlrev_b32_e32 v1, 2, v1
	ds_bpermute_b32 v2, v1, v4
	ds_bpermute_b32 v3, v1, v5
	v_xor_b32_e32 v1, 16, v10
	v_cmp_lt_i32_e32 vcc, v1, v11
	v_cndmask_b32_e32 v1, v10, v1, vcc
	v_lshlrev_b32_e32 v1, 2, v1
	s_waitcnt lgkmcnt(0)
	v_pk_add_f32 v[2:3], v[4:5], v[2:3]
	ds_bpermute_b32 v6, v1, v2
	ds_bpermute_b32 v7, v1, v3
	v_xor_b32_e32 v4, 8, v10
	v_cmp_lt_i32_e32 vcc, v4, v11
	v_cndmask_b32_e32 v4, v10, v4, vcc
	v_lshlrev_b32_e32 v4, 2, v4
	s_waitcnt lgkmcnt(0)
	v_pk_add_f32 v[2:3], v[2:3], v[6:7]
	;; [unrolled: 8-line block ×5, first 2 shown]
	ds_bpermute_b32 v8, v7, v2
	ds_bpermute_b32 v9, v7, v3
	v_and_b32_e32 v10, 63, v0
	v_cmp_gt_u32_e32 vcc, 2, v10
	s_and_saveexec_b64 s[0:1], vcc
	s_cbranch_execz .LBB4_68
; %bb.67:
	v_lshrrev_b32_e32 v11, 4, v0
	v_cmp_eq_u32_e32 vcc, 1, v10
	v_and_b32_e32 v11, 60, v11
	s_waitcnt lgkmcnt(0)
	v_cndmask_b32_e32 v8, v8, v9, vcc
	v_cndmask_b32_e32 v2, v2, v3, vcc
	v_lshl_or_b32 v11, v10, 8, v11
	v_add_f32_e32 v2, v2, v8
	ds_write_b32 v11, v2
.LBB4_68:
	s_or_b64 exec, exec, s[0:1]
	v_cmp_gt_u32_e32 vcc, 32, v0
	s_waitcnt lgkmcnt(0)
	s_barrier
	s_and_saveexec_b64 s[0:1], vcc
	s_cbranch_execz .LBB4_81
; %bb.69:
	s_load_dword s0, s[4:5], 0x2c
	v_and_b32_e32 v3, 15, v0
	v_mov_b32_e32 v2, 0
	s_waitcnt lgkmcnt(0)
	s_and_b32 s0, 0xffff, s0
	s_lshr_b32 s0, s0, 6
	v_cmp_gt_u32_e32 vcc, s0, v3
	s_and_saveexec_b64 s[0:1], vcc
	s_cbranch_execz .LBB4_71
; %bb.70:
	v_lshlrev_b32_e32 v2, 2, v3
	v_lshlrev_b32_e32 v3, 4, v0
	s_movk_i32 s2, 0x3f00
	v_and_or_b32 v2, v3, s2, v2
	ds_read_b32 v2, v2
.LBB4_71:
	s_or_b64 exec, exec, s[0:1]
	s_waitcnt lgkmcnt(0)
	ds_bpermute_b32 v3, v4, v2
	v_cmp_eq_u32_e32 vcc, 0, v0
	s_waitcnt lgkmcnt(0)
	v_add_f32_e32 v2, v2, v3
	ds_bpermute_b32 v3, v5, v2
	s_waitcnt lgkmcnt(0)
	v_add_f32_e32 v2, v2, v3
	ds_bpermute_b32 v3, v6, v2
	;; [unrolled: 3-line block ×4, first 2 shown]
	s_and_b64 exec, exec, vcc
	s_cbranch_execz .LBB4_81
; %bb.72:
	s_mov_b32 s0, 0x7f800000
	v_and_b32_e32 v0, 0x7f800000, v2
	v_cmp_ne_u32_e32 vcc, s0, v0
                                        ; implicit-def: $vgpr0
	s_and_saveexec_b64 s[0:1], vcc
	s_xor_b64 s[0:1], exec, s[0:1]
; %bb.73:
	v_bfe_u32 v0, v2, 16, 1
	s_movk_i32 s2, 0x7fff
	v_add3_u32 v0, v2, v0, s2
                                        ; implicit-def: $vgpr2
; %bb.74:
	s_andn2_saveexec_b64 s[0:1], s[0:1]
; %bb.75:
	v_mov_b32_e32 v0, 0
	v_or_b32_e32 v3, 0x10000, v2
	v_cmp_eq_u32_sdwa vcc, v2, v0 src0_sel:WORD_0 src1_sel:DWORD
	v_cndmask_b32_e32 v0, v3, v2, vcc
; %bb.76:
	s_or_b64 exec, exec, s[0:1]
	s_mov_b32 s0, 0x7f800000
	s_waitcnt lgkmcnt(0)
	v_and_b32_e32 v2, 0x7f800000, v1
	v_cmp_ne_u32_e32 vcc, s0, v2
                                        ; implicit-def: $vgpr2
	s_and_saveexec_b64 s[0:1], vcc
	s_xor_b64 s[0:1], exec, s[0:1]
; %bb.77:
	v_bfe_u32 v2, v1, 16, 1
	s_movk_i32 s2, 0x7fff
	v_add3_u32 v2, v1, v2, s2
                                        ; implicit-def: $vgpr1
; %bb.78:
	s_andn2_saveexec_b64 s[0:1], s[0:1]
; %bb.79:
	v_mov_b32_e32 v2, 0
	v_or_b32_e32 v3, 0x10000, v1
	v_cmp_eq_u32_sdwa vcc, v1, v2 src0_sel:WORD_0 src1_sel:DWORD
	v_cndmask_b32_e32 v2, v3, v1, vcc
; %bb.80:
	s_or_b64 exec, exec, s[0:1]
	s_and_b32 s0, s6, 0x7fffffff
	s_mov_b32 s1, 0
	s_lshl_b64 s[0:1], s[0:1], 2
	s_add_u32 s0, s8, s0
	s_mov_b32 s2, 0x7060302
	s_addc_u32 s1, s9, s1
	v_mov_b32_e32 v1, 0
	v_perm_b32 v0, v2, v0, s2
	global_store_dword v1, v0, s[0:1]
.LBB4_81:
	s_endpgm
	.section	.rodata,"a",@progbits
	.p2align	6, 0x0
	.amdhsa_kernel _Z14LLGemm1_kernelIN3c108BFloat16ELi2EEvPKT_S4_PS2_i
		.amdhsa_group_segment_fixed_size 512
		.amdhsa_private_segment_fixed_size 0
		.amdhsa_kernarg_size 288
		.amdhsa_user_sgpr_count 6
		.amdhsa_user_sgpr_private_segment_buffer 1
		.amdhsa_user_sgpr_dispatch_ptr 0
		.amdhsa_user_sgpr_queue_ptr 0
		.amdhsa_user_sgpr_kernarg_segment_ptr 1
		.amdhsa_user_sgpr_dispatch_id 0
		.amdhsa_user_sgpr_flat_scratch_init 0
		.amdhsa_user_sgpr_kernarg_preload_length 0
		.amdhsa_user_sgpr_kernarg_preload_offset 0
		.amdhsa_user_sgpr_private_segment_size 0
		.amdhsa_uses_dynamic_stack 0
		.amdhsa_system_sgpr_private_segment_wavefront_offset 0
		.amdhsa_system_sgpr_workgroup_id_x 1
		.amdhsa_system_sgpr_workgroup_id_y 0
		.amdhsa_system_sgpr_workgroup_id_z 0
		.amdhsa_system_sgpr_workgroup_info 0
		.amdhsa_system_vgpr_workitem_id 0
		.amdhsa_next_free_vgpr 20
		.amdhsa_next_free_sgpr 14
		.amdhsa_accum_offset 20
		.amdhsa_reserve_vcc 1
		.amdhsa_reserve_flat_scratch 0
		.amdhsa_float_round_mode_32 0
		.amdhsa_float_round_mode_16_64 0
		.amdhsa_float_denorm_mode_32 3
		.amdhsa_float_denorm_mode_16_64 3
		.amdhsa_dx10_clamp 1
		.amdhsa_ieee_mode 1
		.amdhsa_fp16_overflow 0
		.amdhsa_tg_split 0
		.amdhsa_exception_fp_ieee_invalid_op 0
		.amdhsa_exception_fp_denorm_src 0
		.amdhsa_exception_fp_ieee_div_zero 0
		.amdhsa_exception_fp_ieee_overflow 0
		.amdhsa_exception_fp_ieee_underflow 0
		.amdhsa_exception_fp_ieee_inexact 0
		.amdhsa_exception_int_div_zero 0
	.end_amdhsa_kernel
	.section	.text._Z14LLGemm1_kernelIN3c108BFloat16ELi2EEvPKT_S4_PS2_i,"axG",@progbits,_Z14LLGemm1_kernelIN3c108BFloat16ELi2EEvPKT_S4_PS2_i,comdat
.Lfunc_end4:
	.size	_Z14LLGemm1_kernelIN3c108BFloat16ELi2EEvPKT_S4_PS2_i, .Lfunc_end4-_Z14LLGemm1_kernelIN3c108BFloat16ELi2EEvPKT_S4_PS2_i
                                        ; -- End function
	.section	.AMDGPU.csdata,"",@progbits
; Kernel info:
; codeLenInByte = 2712
; NumSgprs: 18
; NumVgprs: 20
; NumAgprs: 0
; TotalNumVgprs: 20
; ScratchSize: 0
; MemoryBound: 0
; FloatMode: 240
; IeeeMode: 1
; LDSByteSize: 512 bytes/workgroup (compile time only)
; SGPRBlocks: 2
; VGPRBlocks: 2
; NumSGPRsForWavesPerEU: 18
; NumVGPRsForWavesPerEU: 20
; AccumOffset: 20
; Occupancy: 8
; WaveLimiterHint : 0
; COMPUTE_PGM_RSRC2:SCRATCH_EN: 0
; COMPUTE_PGM_RSRC2:USER_SGPR: 6
; COMPUTE_PGM_RSRC2:TRAP_HANDLER: 0
; COMPUTE_PGM_RSRC2:TGID_X_EN: 1
; COMPUTE_PGM_RSRC2:TGID_Y_EN: 0
; COMPUTE_PGM_RSRC2:TGID_Z_EN: 0
; COMPUTE_PGM_RSRC2:TIDIG_COMP_CNT: 0
; COMPUTE_PGM_RSRC3_GFX90A:ACCUM_OFFSET: 4
; COMPUTE_PGM_RSRC3_GFX90A:TG_SPLIT: 0
	.section	.text._Z14LLGemm1_kernelIN3c108BFloat16ELi4EEvPKT_S4_PS2_i,"axG",@progbits,_Z14LLGemm1_kernelIN3c108BFloat16ELi4EEvPKT_S4_PS2_i,comdat
	.protected	_Z14LLGemm1_kernelIN3c108BFloat16ELi4EEvPKT_S4_PS2_i ; -- Begin function _Z14LLGemm1_kernelIN3c108BFloat16ELi4EEvPKT_S4_PS2_i
	.globl	_Z14LLGemm1_kernelIN3c108BFloat16ELi4EEvPKT_S4_PS2_i
	.p2align	8
	.type	_Z14LLGemm1_kernelIN3c108BFloat16ELi4EEvPKT_S4_PS2_i,@function
_Z14LLGemm1_kernelIN3c108BFloat16ELi4EEvPKT_S4_PS2_i: ; @_Z14LLGemm1_kernelIN3c108BFloat16ELi4EEvPKT_S4_PS2_i
; %bb.0:
	s_load_dword s0, s[4:5], 0x18
	s_load_dwordx4 s[8:11], s[4:5], 0x0
	s_load_dwordx2 s[12:13], s[4:5], 0x10
	v_lshlrev_b32_e32 v1, 3, v0
	s_mov_b32 s15, 0
	s_waitcnt lgkmcnt(0)
	v_cmp_gt_i32_e32 vcc, s0, v1
	v_mov_b32_e32 v18, 0
	v_mov_b32_e32 v1, 0
	;; [unrolled: 1-line block ×8, first 2 shown]
                                        ; implicit-def: $vgpr2
                                        ; implicit-def: $vgpr6
                                        ; implicit-def: $vgpr10
                                        ; implicit-def: $vgpr14
	s_and_saveexec_b64 s[2:3], vcc
	s_cbranch_execz .LBB5_2
; %bb.1:
	s_mul_i32 s1, s6, s0
	s_bfe_u32 s1, s1, 0x1d0001
	v_add_u32_e32 v2, s1, v0
	v_mov_b32_e32 v3, 0
	v_lshlrev_b64 v[4:5], 4, v[2:3]
	s_lshr_b32 s14, s0, 3
	v_mov_b32_e32 v1, s9
	v_add_co_u32_e64 v4, s[0:1], s8, v4
	v_addc_co_u32_e64 v5, s[0:1], v1, v5, s[0:1]
	s_lshl_b64 s[0:1], s[14:15], 4
	v_mov_b32_e32 v1, s1
	v_add_co_u32_e64 v6, s[0:1], s0, v4
	v_addc_co_u32_e64 v7, s[0:1], v5, v1, s[0:1]
	s_add_i32 s0, s14, s14
	v_add_u32_e32 v2, s0, v2
	global_load_dwordx4 v[14:17], v[4:5], off glc slc
	global_load_dwordx4 v[10:13], v[6:7], off glc slc
	v_lshlrev_b64 v[4:5], 4, v[2:3]
	v_mov_b32_e32 v1, s9
	v_add_co_u32_e64 v18, s[0:1], s8, v4
	v_add_u32_e32 v2, s14, v2
	v_addc_co_u32_e64 v19, s[0:1], v1, v5, s[0:1]
	v_lshlrev_b32_e32 v1, 4, v0
	v_lshlrev_b64 v[2:3], 4, v[2:3]
	global_load_dwordx4 v[24:27], v1, s[10:11]
	v_mov_b32_e32 v1, s9
	v_add_co_u32_e64 v20, s[0:1], s8, v2
	v_addc_co_u32_e64 v21, s[0:1], v1, v3, s[0:1]
	global_load_dwordx4 v[6:9], v[18:19], off glc slc
	global_load_dwordx4 v[2:5], v[20:21], off glc slc
	s_waitcnt vmcnt(2)
	v_and_b32_e32 v23, 0xffff0000, v24
	v_lshlrev_b32_e32 v24, 16, v24
	v_and_b32_e32 v21, 0xffff0000, v25
	v_lshlrev_b32_e32 v22, 16, v25
	;; [unrolled: 2-line block ×4, first 2 shown]
.LBB5_2:
	s_or_b64 exec, exec, s[2:3]
	v_lshlrev_b32_e32 v25, 16, v14
	v_mul_f32_e32 v26, v24, v25
	s_mov_b32 s0, 0x7f800000
	v_and_b32_e32 v25, 0x7f800000, v26
	v_cmp_ne_u32_e64 s[0:1], s0, v25
                                        ; implicit-def: $vgpr25
	s_and_saveexec_b64 s[2:3], s[0:1]
	s_xor_b64 s[0:1], exec, s[2:3]
; %bb.3:
	v_bfe_u32 v25, v26, 16, 1
	s_movk_i32 s2, 0x7fff
	v_add3_u32 v25, v26, v25, s2
                                        ; implicit-def: $vgpr26
; %bb.4:
	s_andn2_saveexec_b64 s[2:3], s[0:1]
; %bb.5:
	v_mov_b32_e32 v25, 0
	v_or_b32_e32 v27, 0x10000, v26
	v_cmp_eq_u32_sdwa s[0:1], v26, v25 src0_sel:WORD_0 src1_sel:DWORD
	v_cndmask_b32_e64 v25, v27, v26, s[0:1]
; %bb.6:
	s_or_b64 exec, exec, s[2:3]
	v_and_b32_e32 v14, 0xffff0000, v14
	v_mul_f32_e32 v26, v23, v14
	s_mov_b32 s0, 0x7f800000
	v_and_b32_e32 v14, 0x7f800000, v26
	v_cmp_ne_u32_e64 s[0:1], s0, v14
                                        ; implicit-def: $vgpr14
	s_and_saveexec_b64 s[2:3], s[0:1]
	s_xor_b64 s[0:1], exec, s[2:3]
; %bb.7:
	v_bfe_u32 v14, v26, 16, 1
	s_movk_i32 s2, 0x7fff
	v_add3_u32 v14, v26, v14, s2
                                        ; implicit-def: $vgpr26
; %bb.8:
	s_andn2_saveexec_b64 s[2:3], s[0:1]
; %bb.9:
	v_mov_b32_e32 v14, 0
	v_or_b32_e32 v27, 0x10000, v26
	v_cmp_eq_u32_sdwa s[0:1], v26, v14 src0_sel:WORD_0 src1_sel:DWORD
	v_cndmask_b32_e64 v14, v27, v26, s[0:1]
; %bb.10:
	s_or_b64 exec, exec, s[2:3]
	v_and_b32_e32 v26, 0xffff0000, v25
	v_lshlrev_b32_e32 v25, 16, v15
	v_fmac_f32_e32 v26, v25, v22
	s_mov_b32 s0, 0x7f800000
	v_and_b32_e32 v25, 0x7f800000, v26
	v_cmp_ne_u32_e64 s[0:1], s0, v25
                                        ; implicit-def: $vgpr25
	s_and_saveexec_b64 s[2:3], s[0:1]
	s_xor_b64 s[0:1], exec, s[2:3]
; %bb.11:
	v_bfe_u32 v25, v26, 16, 1
	s_movk_i32 s2, 0x7fff
	v_add3_u32 v25, v26, v25, s2
                                        ; implicit-def: $vgpr26
; %bb.12:
	s_andn2_saveexec_b64 s[2:3], s[0:1]
; %bb.13:
	v_mov_b32_e32 v25, 0
	v_or_b32_e32 v27, 0x10000, v26
	v_cmp_eq_u32_sdwa s[0:1], v26, v25 src0_sel:WORD_0 src1_sel:DWORD
	v_cndmask_b32_e64 v25, v27, v26, s[0:1]
; %bb.14:
	s_or_b64 exec, exec, s[2:3]
	v_and_b32_e32 v26, 0xffff0000, v14
	v_and_b32_e32 v14, 0xffff0000, v15
	v_fmac_f32_e32 v26, v14, v21
	s_mov_b32 s0, 0x7f800000
	v_and_b32_e32 v14, 0x7f800000, v26
	v_cmp_ne_u32_e64 s[0:1], s0, v14
                                        ; implicit-def: $vgpr14
	s_and_saveexec_b64 s[2:3], s[0:1]
	s_xor_b64 s[0:1], exec, s[2:3]
; %bb.15:
	v_bfe_u32 v14, v26, 16, 1
	s_movk_i32 s2, 0x7fff
	v_add3_u32 v14, v26, v14, s2
                                        ; implicit-def: $vgpr26
; %bb.16:
	s_andn2_saveexec_b64 s[2:3], s[0:1]
; %bb.17:
	v_mov_b32_e32 v14, 0
	v_or_b32_e32 v15, 0x10000, v26
	v_cmp_eq_u32_sdwa s[0:1], v26, v14 src0_sel:WORD_0 src1_sel:DWORD
	v_cndmask_b32_e64 v14, v15, v26, s[0:1]
; %bb.18:
	s_or_b64 exec, exec, s[2:3]
	v_and_b32_e32 v25, 0xffff0000, v25
	v_lshlrev_b32_e32 v15, 16, v16
	v_fmac_f32_e32 v25, v15, v20
	s_mov_b32 s0, 0x7f800000
	v_and_b32_e32 v15, 0x7f800000, v25
	v_cmp_ne_u32_e64 s[0:1], s0, v15
                                        ; implicit-def: $vgpr15
	s_and_saveexec_b64 s[2:3], s[0:1]
	s_xor_b64 s[0:1], exec, s[2:3]
; %bb.19:
	v_bfe_u32 v15, v25, 16, 1
	s_movk_i32 s2, 0x7fff
	v_add3_u32 v15, v25, v15, s2
                                        ; implicit-def: $vgpr25
; %bb.20:
	s_andn2_saveexec_b64 s[2:3], s[0:1]
; %bb.21:
	v_mov_b32_e32 v15, 0
	v_or_b32_e32 v26, 0x10000, v25
	v_cmp_eq_u32_sdwa s[0:1], v25, v15 src0_sel:WORD_0 src1_sel:DWORD
	v_cndmask_b32_e64 v15, v26, v25, s[0:1]
; %bb.22:
	s_or_b64 exec, exec, s[2:3]
	v_and_b32_e32 v14, 0xffff0000, v14
	v_and_b32_e32 v16, 0xffff0000, v16
	v_fmac_f32_e32 v14, v16, v19
	s_mov_b32 s0, 0x7f800000
	v_and_b32_e32 v16, 0x7f800000, v14
	v_cmp_ne_u32_e64 s[0:1], s0, v16
                                        ; implicit-def: $vgpr16
	s_and_saveexec_b64 s[2:3], s[0:1]
	s_xor_b64 s[0:1], exec, s[2:3]
; %bb.23:
	v_bfe_u32 v16, v14, 16, 1
	s_movk_i32 s2, 0x7fff
	v_add3_u32 v16, v14, v16, s2
                                        ; implicit-def: $vgpr14
; %bb.24:
	s_andn2_saveexec_b64 s[2:3], s[0:1]
; %bb.25:
	v_mov_b32_e32 v16, 0
	v_or_b32_e32 v25, 0x10000, v14
	v_cmp_eq_u32_sdwa s[0:1], v14, v16 src0_sel:WORD_0 src1_sel:DWORD
	v_cndmask_b32_e64 v16, v25, v14, s[0:1]
; %bb.26:
	s_or_b64 exec, exec, s[2:3]
	v_and_b32_e32 v15, 0xffff0000, v15
	v_lshlrev_b32_e32 v14, 16, v17
	v_fmac_f32_e32 v15, v14, v18
	s_mov_b32 s0, 0x7f800000
	v_and_b32_e32 v14, 0x7f800000, v15
	v_cmp_ne_u32_e64 s[0:1], s0, v14
                                        ; implicit-def: $vgpr14
	s_and_saveexec_b64 s[2:3], s[0:1]
	s_xor_b64 s[0:1], exec, s[2:3]
; %bb.27:
	v_bfe_u32 v14, v15, 16, 1
	s_movk_i32 s2, 0x7fff
	v_add3_u32 v14, v15, v14, s2
                                        ; implicit-def: $vgpr15
; %bb.28:
	s_andn2_saveexec_b64 s[2:3], s[0:1]
; %bb.29:
	v_mov_b32_e32 v14, 0
	v_or_b32_e32 v25, 0x10000, v15
	v_cmp_eq_u32_sdwa s[0:1], v15, v14 src0_sel:WORD_0 src1_sel:DWORD
	v_cndmask_b32_e64 v14, v25, v15, s[0:1]
; %bb.30:
	s_or_b64 exec, exec, s[2:3]
	v_and_b32_e32 v16, 0xffff0000, v16
	v_and_b32_e32 v15, 0xffff0000, v17
	v_fmac_f32_e32 v16, v15, v1
	s_mov_b32 s0, 0x7f800000
	v_and_b32_e32 v15, 0x7f800000, v16
	v_cmp_ne_u32_e64 s[0:1], s0, v15
                                        ; implicit-def: $vgpr15
	s_and_saveexec_b64 s[2:3], s[0:1]
	s_xor_b64 s[0:1], exec, s[2:3]
; %bb.31:
	v_bfe_u32 v15, v16, 16, 1
	s_movk_i32 s2, 0x7fff
	v_add3_u32 v15, v16, v15, s2
                                        ; implicit-def: $vgpr16
; %bb.32:
	s_andn2_saveexec_b64 s[2:3], s[0:1]
; %bb.33:
	v_mov_b32_e32 v15, 0
	v_or_b32_e32 v17, 0x10000, v16
	v_cmp_eq_u32_sdwa s[0:1], v16, v15 src0_sel:WORD_0 src1_sel:DWORD
	v_cndmask_b32_e64 v15, v17, v16, s[0:1]
; %bb.34:
	s_or_b64 exec, exec, s[2:3]
	v_lshlrev_b32_e32 v16, 16, v10
	v_mul_f32_e32 v17, v24, v16
	s_mov_b32 s0, 0x7f800000
	v_and_b32_e32 v16, 0x7f800000, v17
	v_cmp_ne_u32_e64 s[0:1], s0, v16
                                        ; implicit-def: $vgpr16
	s_and_saveexec_b64 s[2:3], s[0:1]
	s_xor_b64 s[0:1], exec, s[2:3]
; %bb.35:
	v_bfe_u32 v16, v17, 16, 1
	s_movk_i32 s2, 0x7fff
	v_add3_u32 v16, v17, v16, s2
                                        ; implicit-def: $vgpr17
; %bb.36:
	s_andn2_saveexec_b64 s[2:3], s[0:1]
; %bb.37:
	v_mov_b32_e32 v16, 0
	v_or_b32_e32 v25, 0x10000, v17
	v_cmp_eq_u32_sdwa s[0:1], v17, v16 src0_sel:WORD_0 src1_sel:DWORD
	v_cndmask_b32_e64 v16, v25, v17, s[0:1]
; %bb.38:
	s_or_b64 exec, exec, s[2:3]
	v_and_b32_e32 v10, 0xffff0000, v10
	v_mul_f32_e32 v17, v23, v10
	s_mov_b32 s0, 0x7f800000
	v_and_b32_e32 v10, 0x7f800000, v17
	v_cmp_ne_u32_e64 s[0:1], s0, v10
                                        ; implicit-def: $vgpr10
	s_and_saveexec_b64 s[2:3], s[0:1]
	s_xor_b64 s[0:1], exec, s[2:3]
; %bb.39:
	v_bfe_u32 v10, v17, 16, 1
	s_movk_i32 s2, 0x7fff
	v_add3_u32 v10, v17, v10, s2
                                        ; implicit-def: $vgpr17
; %bb.40:
	s_andn2_saveexec_b64 s[2:3], s[0:1]
; %bb.41:
	v_mov_b32_e32 v10, 0
	v_or_b32_e32 v25, 0x10000, v17
	v_cmp_eq_u32_sdwa s[0:1], v17, v10 src0_sel:WORD_0 src1_sel:DWORD
	v_cndmask_b32_e64 v10, v25, v17, s[0:1]
; %bb.42:
	s_or_b64 exec, exec, s[2:3]
	v_and_b32_e32 v17, 0xffff0000, v16
	v_lshlrev_b32_e32 v16, 16, v11
	v_fmac_f32_e32 v17, v16, v22
	s_mov_b32 s0, 0x7f800000
	v_and_b32_e32 v16, 0x7f800000, v17
	v_cmp_ne_u32_e64 s[0:1], s0, v16
                                        ; implicit-def: $vgpr16
	s_and_saveexec_b64 s[2:3], s[0:1]
	s_xor_b64 s[0:1], exec, s[2:3]
; %bb.43:
	v_bfe_u32 v16, v17, 16, 1
	s_movk_i32 s2, 0x7fff
	v_add3_u32 v16, v17, v16, s2
                                        ; implicit-def: $vgpr17
; %bb.44:
	s_andn2_saveexec_b64 s[2:3], s[0:1]
; %bb.45:
	v_mov_b32_e32 v16, 0
	v_or_b32_e32 v25, 0x10000, v17
	v_cmp_eq_u32_sdwa s[0:1], v17, v16 src0_sel:WORD_0 src1_sel:DWORD
	v_cndmask_b32_e64 v16, v25, v17, s[0:1]
; %bb.46:
	s_or_b64 exec, exec, s[2:3]
	v_and_b32_e32 v17, 0xffff0000, v10
	v_and_b32_e32 v10, 0xffff0000, v11
	v_fmac_f32_e32 v17, v10, v21
	s_mov_b32 s0, 0x7f800000
	v_and_b32_e32 v10, 0x7f800000, v17
	v_cmp_ne_u32_e64 s[0:1], s0, v10
                                        ; implicit-def: $vgpr10
	s_and_saveexec_b64 s[2:3], s[0:1]
	s_xor_b64 s[0:1], exec, s[2:3]
; %bb.47:
	v_bfe_u32 v10, v17, 16, 1
	s_movk_i32 s2, 0x7fff
	v_add3_u32 v10, v17, v10, s2
                                        ; implicit-def: $vgpr17
; %bb.48:
	s_andn2_saveexec_b64 s[2:3], s[0:1]
; %bb.49:
	v_mov_b32_e32 v10, 0
	v_or_b32_e32 v11, 0x10000, v17
	v_cmp_eq_u32_sdwa s[0:1], v17, v10 src0_sel:WORD_0 src1_sel:DWORD
	v_cndmask_b32_e64 v10, v11, v17, s[0:1]
; %bb.50:
	s_or_b64 exec, exec, s[2:3]
	v_and_b32_e32 v16, 0xffff0000, v16
	v_lshlrev_b32_e32 v11, 16, v12
	v_fmac_f32_e32 v16, v11, v20
	s_mov_b32 s0, 0x7f800000
	v_and_b32_e32 v11, 0x7f800000, v16
	v_cmp_ne_u32_e64 s[0:1], s0, v11
                                        ; implicit-def: $vgpr11
	s_and_saveexec_b64 s[2:3], s[0:1]
	s_xor_b64 s[0:1], exec, s[2:3]
; %bb.51:
	v_bfe_u32 v11, v16, 16, 1
	s_movk_i32 s2, 0x7fff
	v_add3_u32 v11, v16, v11, s2
                                        ; implicit-def: $vgpr16
; %bb.52:
	s_andn2_saveexec_b64 s[2:3], s[0:1]
; %bb.53:
	v_mov_b32_e32 v11, 0
	v_or_b32_e32 v17, 0x10000, v16
	v_cmp_eq_u32_sdwa s[0:1], v16, v11 src0_sel:WORD_0 src1_sel:DWORD
	v_cndmask_b32_e64 v11, v17, v16, s[0:1]
; %bb.54:
	s_or_b64 exec, exec, s[2:3]
	v_and_b32_e32 v10, 0xffff0000, v10
	v_and_b32_e32 v12, 0xffff0000, v12
	v_fmac_f32_e32 v10, v12, v19
	s_mov_b32 s0, 0x7f800000
	v_and_b32_e32 v12, 0x7f800000, v10
	v_cmp_ne_u32_e64 s[0:1], s0, v12
                                        ; implicit-def: $vgpr12
	s_and_saveexec_b64 s[2:3], s[0:1]
	s_xor_b64 s[0:1], exec, s[2:3]
; %bb.55:
	v_bfe_u32 v12, v10, 16, 1
	s_movk_i32 s2, 0x7fff
	v_add3_u32 v12, v10, v12, s2
                                        ; implicit-def: $vgpr10
; %bb.56:
	s_andn2_saveexec_b64 s[2:3], s[0:1]
; %bb.57:
	v_mov_b32_e32 v12, 0
	v_or_b32_e32 v16, 0x10000, v10
	v_cmp_eq_u32_sdwa s[0:1], v10, v12 src0_sel:WORD_0 src1_sel:DWORD
	v_cndmask_b32_e64 v12, v16, v10, s[0:1]
; %bb.58:
	s_or_b64 exec, exec, s[2:3]
	v_and_b32_e32 v11, 0xffff0000, v11
	v_lshlrev_b32_e32 v10, 16, v13
	v_fmac_f32_e32 v11, v10, v18
	s_mov_b32 s0, 0x7f800000
	v_and_b32_e32 v10, 0x7f800000, v11
	v_cmp_ne_u32_e64 s[0:1], s0, v10
                                        ; implicit-def: $vgpr10
	s_and_saveexec_b64 s[2:3], s[0:1]
	s_xor_b64 s[0:1], exec, s[2:3]
; %bb.59:
	v_bfe_u32 v10, v11, 16, 1
	s_movk_i32 s2, 0x7fff
	v_add3_u32 v10, v11, v10, s2
                                        ; implicit-def: $vgpr11
; %bb.60:
	s_andn2_saveexec_b64 s[2:3], s[0:1]
; %bb.61:
	v_mov_b32_e32 v10, 0
	v_or_b32_e32 v16, 0x10000, v11
	v_cmp_eq_u32_sdwa s[0:1], v11, v10 src0_sel:WORD_0 src1_sel:DWORD
	v_cndmask_b32_e64 v10, v16, v11, s[0:1]
; %bb.62:
	s_or_b64 exec, exec, s[2:3]
	v_and_b32_e32 v12, 0xffff0000, v12
	v_and_b32_e32 v11, 0xffff0000, v13
	v_fmac_f32_e32 v12, v11, v1
	s_mov_b32 s0, 0x7f800000
	v_and_b32_e32 v11, 0x7f800000, v12
	v_cmp_ne_u32_e64 s[0:1], s0, v11
                                        ; implicit-def: $vgpr11
	s_and_saveexec_b64 s[2:3], s[0:1]
	s_xor_b64 s[0:1], exec, s[2:3]
; %bb.63:
	v_bfe_u32 v11, v12, 16, 1
	s_movk_i32 s2, 0x7fff
	v_add3_u32 v11, v12, v11, s2
                                        ; implicit-def: $vgpr12
; %bb.64:
	s_andn2_saveexec_b64 s[2:3], s[0:1]
; %bb.65:
	v_mov_b32_e32 v11, 0
	v_or_b32_e32 v13, 0x10000, v12
	v_cmp_eq_u32_sdwa s[0:1], v12, v11 src0_sel:WORD_0 src1_sel:DWORD
	v_cndmask_b32_e64 v11, v13, v12, s[0:1]
; %bb.66:
	s_or_b64 exec, exec, s[2:3]
	s_waitcnt vmcnt(1)
	v_lshlrev_b32_e32 v12, 16, v6
	v_mul_f32_e32 v13, v24, v12
	s_mov_b32 s0, 0x7f800000
	v_and_b32_e32 v12, 0x7f800000, v13
	v_cmp_ne_u32_e64 s[0:1], s0, v12
                                        ; implicit-def: $vgpr12
	s_and_saveexec_b64 s[2:3], s[0:1]
	s_xor_b64 s[0:1], exec, s[2:3]
; %bb.67:
	v_bfe_u32 v12, v13, 16, 1
	s_movk_i32 s2, 0x7fff
	v_add3_u32 v12, v13, v12, s2
                                        ; implicit-def: $vgpr13
; %bb.68:
	s_andn2_saveexec_b64 s[2:3], s[0:1]
; %bb.69:
	v_mov_b32_e32 v12, 0
	v_or_b32_e32 v16, 0x10000, v13
	v_cmp_eq_u32_sdwa s[0:1], v13, v12 src0_sel:WORD_0 src1_sel:DWORD
	v_cndmask_b32_e64 v12, v16, v13, s[0:1]
; %bb.70:
	s_or_b64 exec, exec, s[2:3]
	v_and_b32_e32 v6, 0xffff0000, v6
	v_mul_f32_e32 v13, v23, v6
	s_mov_b32 s0, 0x7f800000
	v_and_b32_e32 v6, 0x7f800000, v13
	v_cmp_ne_u32_e64 s[0:1], s0, v6
                                        ; implicit-def: $vgpr6
	s_and_saveexec_b64 s[2:3], s[0:1]
	s_xor_b64 s[0:1], exec, s[2:3]
; %bb.71:
	v_bfe_u32 v6, v13, 16, 1
	s_movk_i32 s2, 0x7fff
	v_add3_u32 v6, v13, v6, s2
                                        ; implicit-def: $vgpr13
; %bb.72:
	s_andn2_saveexec_b64 s[2:3], s[0:1]
; %bb.73:
	v_mov_b32_e32 v6, 0
	v_or_b32_e32 v16, 0x10000, v13
	v_cmp_eq_u32_sdwa s[0:1], v13, v6 src0_sel:WORD_0 src1_sel:DWORD
	v_cndmask_b32_e64 v6, v16, v13, s[0:1]
; %bb.74:
	s_or_b64 exec, exec, s[2:3]
	v_and_b32_e32 v13, 0xffff0000, v12
	v_lshlrev_b32_e32 v12, 16, v7
	v_fmac_f32_e32 v13, v12, v22
	s_mov_b32 s0, 0x7f800000
	v_and_b32_e32 v12, 0x7f800000, v13
	v_cmp_ne_u32_e64 s[0:1], s0, v12
                                        ; implicit-def: $vgpr12
	s_and_saveexec_b64 s[2:3], s[0:1]
	s_xor_b64 s[0:1], exec, s[2:3]
; %bb.75:
	v_bfe_u32 v12, v13, 16, 1
	s_movk_i32 s2, 0x7fff
	v_add3_u32 v12, v13, v12, s2
                                        ; implicit-def: $vgpr13
; %bb.76:
	s_andn2_saveexec_b64 s[2:3], s[0:1]
; %bb.77:
	v_mov_b32_e32 v12, 0
	v_or_b32_e32 v16, 0x10000, v13
	v_cmp_eq_u32_sdwa s[0:1], v13, v12 src0_sel:WORD_0 src1_sel:DWORD
	v_cndmask_b32_e64 v12, v16, v13, s[0:1]
; %bb.78:
	s_or_b64 exec, exec, s[2:3]
	v_and_b32_e32 v13, 0xffff0000, v6
	v_and_b32_e32 v6, 0xffff0000, v7
	v_fmac_f32_e32 v13, v6, v21
	s_mov_b32 s0, 0x7f800000
	v_and_b32_e32 v6, 0x7f800000, v13
	v_cmp_ne_u32_e64 s[0:1], s0, v6
                                        ; implicit-def: $vgpr6
	s_and_saveexec_b64 s[2:3], s[0:1]
	s_xor_b64 s[0:1], exec, s[2:3]
; %bb.79:
	v_bfe_u32 v6, v13, 16, 1
	s_movk_i32 s2, 0x7fff
	v_add3_u32 v6, v13, v6, s2
                                        ; implicit-def: $vgpr13
; %bb.80:
	s_andn2_saveexec_b64 s[2:3], s[0:1]
; %bb.81:
	v_mov_b32_e32 v6, 0
	v_or_b32_e32 v7, 0x10000, v13
	v_cmp_eq_u32_sdwa s[0:1], v13, v6 src0_sel:WORD_0 src1_sel:DWORD
	v_cndmask_b32_e64 v6, v7, v13, s[0:1]
; %bb.82:
	s_or_b64 exec, exec, s[2:3]
	v_and_b32_e32 v12, 0xffff0000, v12
	v_lshlrev_b32_e32 v7, 16, v8
	v_fmac_f32_e32 v12, v7, v20
	s_mov_b32 s0, 0x7f800000
	v_and_b32_e32 v7, 0x7f800000, v12
	v_cmp_ne_u32_e64 s[0:1], s0, v7
                                        ; implicit-def: $vgpr7
	s_and_saveexec_b64 s[2:3], s[0:1]
	s_xor_b64 s[0:1], exec, s[2:3]
; %bb.83:
	v_bfe_u32 v7, v12, 16, 1
	s_movk_i32 s2, 0x7fff
	v_add3_u32 v7, v12, v7, s2
                                        ; implicit-def: $vgpr12
; %bb.84:
	s_andn2_saveexec_b64 s[2:3], s[0:1]
; %bb.85:
	v_mov_b32_e32 v7, 0
	v_or_b32_e32 v13, 0x10000, v12
	v_cmp_eq_u32_sdwa s[0:1], v12, v7 src0_sel:WORD_0 src1_sel:DWORD
	v_cndmask_b32_e64 v7, v13, v12, s[0:1]
; %bb.86:
	s_or_b64 exec, exec, s[2:3]
	v_and_b32_e32 v6, 0xffff0000, v6
	v_and_b32_e32 v8, 0xffff0000, v8
	v_fmac_f32_e32 v6, v8, v19
	s_mov_b32 s0, 0x7f800000
	v_and_b32_e32 v8, 0x7f800000, v6
	v_cmp_ne_u32_e64 s[0:1], s0, v8
                                        ; implicit-def: $vgpr8
	s_and_saveexec_b64 s[2:3], s[0:1]
	s_xor_b64 s[0:1], exec, s[2:3]
; %bb.87:
	v_bfe_u32 v8, v6, 16, 1
	s_movk_i32 s2, 0x7fff
	v_add3_u32 v8, v6, v8, s2
                                        ; implicit-def: $vgpr6
; %bb.88:
	s_andn2_saveexec_b64 s[2:3], s[0:1]
; %bb.89:
	v_mov_b32_e32 v8, 0
	v_or_b32_e32 v12, 0x10000, v6
	v_cmp_eq_u32_sdwa s[0:1], v6, v8 src0_sel:WORD_0 src1_sel:DWORD
	v_cndmask_b32_e64 v8, v12, v6, s[0:1]
; %bb.90:
	s_or_b64 exec, exec, s[2:3]
	v_and_b32_e32 v7, 0xffff0000, v7
	v_lshlrev_b32_e32 v6, 16, v9
	v_fmac_f32_e32 v7, v6, v18
	s_mov_b32 s0, 0x7f800000
	v_and_b32_e32 v6, 0x7f800000, v7
	v_cmp_ne_u32_e64 s[0:1], s0, v6
                                        ; implicit-def: $vgpr6
	s_and_saveexec_b64 s[2:3], s[0:1]
	s_xor_b64 s[0:1], exec, s[2:3]
; %bb.91:
	v_bfe_u32 v6, v7, 16, 1
	s_movk_i32 s2, 0x7fff
	v_add3_u32 v6, v7, v6, s2
                                        ; implicit-def: $vgpr7
; %bb.92:
	s_andn2_saveexec_b64 s[2:3], s[0:1]
; %bb.93:
	v_mov_b32_e32 v6, 0
	v_or_b32_e32 v12, 0x10000, v7
	v_cmp_eq_u32_sdwa s[0:1], v7, v6 src0_sel:WORD_0 src1_sel:DWORD
	v_cndmask_b32_e64 v6, v12, v7, s[0:1]
; %bb.94:
	s_or_b64 exec, exec, s[2:3]
	v_and_b32_e32 v8, 0xffff0000, v8
	v_and_b32_e32 v7, 0xffff0000, v9
	v_fmac_f32_e32 v8, v7, v1
	s_mov_b32 s0, 0x7f800000
	v_and_b32_e32 v7, 0x7f800000, v8
	v_cmp_ne_u32_e64 s[0:1], s0, v7
                                        ; implicit-def: $vgpr7
	s_and_saveexec_b64 s[2:3], s[0:1]
	s_xor_b64 s[0:1], exec, s[2:3]
; %bb.95:
	v_bfe_u32 v7, v8, 16, 1
	s_movk_i32 s2, 0x7fff
	v_add3_u32 v7, v8, v7, s2
                                        ; implicit-def: $vgpr8
; %bb.96:
	s_andn2_saveexec_b64 s[2:3], s[0:1]
; %bb.97:
	v_mov_b32_e32 v7, 0
	v_or_b32_e32 v9, 0x10000, v8
	v_cmp_eq_u32_sdwa s[0:1], v8, v7 src0_sel:WORD_0 src1_sel:DWORD
	v_cndmask_b32_e64 v7, v9, v8, s[0:1]
; %bb.98:
	s_or_b64 exec, exec, s[2:3]
	s_waitcnt vmcnt(0)
	v_lshlrev_b32_e32 v8, 16, v2
	v_mul_f32_e32 v9, v24, v8
	s_mov_b32 s0, 0x7f800000
	v_and_b32_e32 v8, 0x7f800000, v9
	v_cmp_ne_u32_e64 s[0:1], s0, v8
                                        ; implicit-def: $vgpr8
	s_and_saveexec_b64 s[2:3], s[0:1]
	s_xor_b64 s[0:1], exec, s[2:3]
; %bb.99:
	v_bfe_u32 v8, v9, 16, 1
	s_movk_i32 s2, 0x7fff
	v_add3_u32 v8, v9, v8, s2
                                        ; implicit-def: $vgpr9
; %bb.100:
	s_andn2_saveexec_b64 s[2:3], s[0:1]
; %bb.101:
	v_mov_b32_e32 v8, 0
	v_or_b32_e32 v12, 0x10000, v9
	v_cmp_eq_u32_sdwa s[0:1], v9, v8 src0_sel:WORD_0 src1_sel:DWORD
	v_cndmask_b32_e64 v8, v12, v9, s[0:1]
; %bb.102:
	s_or_b64 exec, exec, s[2:3]
	v_and_b32_e32 v2, 0xffff0000, v2
	v_mul_f32_e32 v9, v23, v2
	s_mov_b32 s0, 0x7f800000
	v_and_b32_e32 v2, 0x7f800000, v9
	v_cmp_ne_u32_e64 s[0:1], s0, v2
                                        ; implicit-def: $vgpr2
	s_and_saveexec_b64 s[2:3], s[0:1]
	s_xor_b64 s[0:1], exec, s[2:3]
; %bb.103:
	v_bfe_u32 v2, v9, 16, 1
	s_movk_i32 s2, 0x7fff
	v_add3_u32 v2, v9, v2, s2
                                        ; implicit-def: $vgpr9
; %bb.104:
	s_andn2_saveexec_b64 s[2:3], s[0:1]
; %bb.105:
	v_mov_b32_e32 v2, 0
	v_or_b32_e32 v12, 0x10000, v9
	v_cmp_eq_u32_sdwa s[0:1], v9, v2 src0_sel:WORD_0 src1_sel:DWORD
	v_cndmask_b32_e64 v2, v12, v9, s[0:1]
; %bb.106:
	s_or_b64 exec, exec, s[2:3]
	v_and_b32_e32 v9, 0xffff0000, v8
	v_lshlrev_b32_e32 v8, 16, v3
	v_fmac_f32_e32 v9, v8, v22
	s_mov_b32 s0, 0x7f800000
	v_and_b32_e32 v8, 0x7f800000, v9
	v_cmp_ne_u32_e64 s[0:1], s0, v8
                                        ; implicit-def: $vgpr8
	s_and_saveexec_b64 s[2:3], s[0:1]
	s_xor_b64 s[0:1], exec, s[2:3]
; %bb.107:
	v_bfe_u32 v8, v9, 16, 1
	s_movk_i32 s2, 0x7fff
	v_add3_u32 v8, v9, v8, s2
                                        ; implicit-def: $vgpr9
; %bb.108:
	s_andn2_saveexec_b64 s[2:3], s[0:1]
; %bb.109:
	v_mov_b32_e32 v8, 0
	v_or_b32_e32 v12, 0x10000, v9
	v_cmp_eq_u32_sdwa s[0:1], v9, v8 src0_sel:WORD_0 src1_sel:DWORD
	v_cndmask_b32_e64 v8, v12, v9, s[0:1]
; %bb.110:
	s_or_b64 exec, exec, s[2:3]
	v_and_b32_e32 v9, 0xffff0000, v2
	v_and_b32_e32 v2, 0xffff0000, v3
	v_fmac_f32_e32 v9, v2, v21
	s_mov_b32 s0, 0x7f800000
	v_and_b32_e32 v2, 0x7f800000, v9
	v_cmp_ne_u32_e64 s[0:1], s0, v2
                                        ; implicit-def: $vgpr2
	s_and_saveexec_b64 s[2:3], s[0:1]
	s_xor_b64 s[0:1], exec, s[2:3]
; %bb.111:
	v_bfe_u32 v2, v9, 16, 1
	s_movk_i32 s2, 0x7fff
	v_add3_u32 v2, v9, v2, s2
                                        ; implicit-def: $vgpr9
; %bb.112:
	s_andn2_saveexec_b64 s[2:3], s[0:1]
; %bb.113:
	v_mov_b32_e32 v2, 0
	v_or_b32_e32 v3, 0x10000, v9
	v_cmp_eq_u32_sdwa s[0:1], v9, v2 src0_sel:WORD_0 src1_sel:DWORD
	v_cndmask_b32_e64 v2, v3, v9, s[0:1]
; %bb.114:
	s_or_b64 exec, exec, s[2:3]
	v_and_b32_e32 v8, 0xffff0000, v8
	v_lshlrev_b32_e32 v3, 16, v4
	v_fmac_f32_e32 v8, v3, v20
	s_mov_b32 s0, 0x7f800000
	v_and_b32_e32 v3, 0x7f800000, v8
	v_cmp_ne_u32_e64 s[0:1], s0, v3
                                        ; implicit-def: $vgpr3
	s_and_saveexec_b64 s[2:3], s[0:1]
	s_xor_b64 s[0:1], exec, s[2:3]
; %bb.115:
	v_bfe_u32 v3, v8, 16, 1
	s_movk_i32 s2, 0x7fff
	v_add3_u32 v3, v8, v3, s2
                                        ; implicit-def: $vgpr8
; %bb.116:
	s_andn2_saveexec_b64 s[2:3], s[0:1]
; %bb.117:
	v_mov_b32_e32 v3, 0
	v_or_b32_e32 v9, 0x10000, v8
	v_cmp_eq_u32_sdwa s[0:1], v8, v3 src0_sel:WORD_0 src1_sel:DWORD
	v_cndmask_b32_e64 v3, v9, v8, s[0:1]
; %bb.118:
	s_or_b64 exec, exec, s[2:3]
	v_and_b32_e32 v2, 0xffff0000, v2
	v_and_b32_e32 v4, 0xffff0000, v4
	v_fmac_f32_e32 v2, v4, v19
	s_mov_b32 s0, 0x7f800000
	v_and_b32_e32 v4, 0x7f800000, v2
	v_cmp_ne_u32_e64 s[0:1], s0, v4
                                        ; implicit-def: $vgpr4
	s_and_saveexec_b64 s[2:3], s[0:1]
	s_xor_b64 s[0:1], exec, s[2:3]
; %bb.119:
	v_bfe_u32 v4, v2, 16, 1
	s_movk_i32 s2, 0x7fff
	v_add3_u32 v4, v2, v4, s2
                                        ; implicit-def: $vgpr2
; %bb.120:
	s_andn2_saveexec_b64 s[2:3], s[0:1]
; %bb.121:
	v_mov_b32_e32 v4, 0
	v_or_b32_e32 v8, 0x10000, v2
	v_cmp_eq_u32_sdwa s[0:1], v2, v4 src0_sel:WORD_0 src1_sel:DWORD
	v_cndmask_b32_e64 v4, v8, v2, s[0:1]
; %bb.122:
	s_or_b64 exec, exec, s[2:3]
	v_and_b32_e32 v3, 0xffff0000, v3
	v_lshlrev_b32_e32 v2, 16, v5
	v_fmac_f32_e32 v3, v2, v18
	s_mov_b32 s0, 0x7f800000
	v_and_b32_e32 v2, 0x7f800000, v3
	v_cmp_ne_u32_e64 s[0:1], s0, v2
                                        ; implicit-def: $vgpr2
	s_and_saveexec_b64 s[2:3], s[0:1]
	s_xor_b64 s[0:1], exec, s[2:3]
; %bb.123:
	v_bfe_u32 v2, v3, 16, 1
	s_movk_i32 s2, 0x7fff
	v_add3_u32 v2, v3, v2, s2
                                        ; implicit-def: $vgpr3
; %bb.124:
	s_andn2_saveexec_b64 s[2:3], s[0:1]
; %bb.125:
	v_mov_b32_e32 v2, 0
	v_or_b32_e32 v8, 0x10000, v3
	v_cmp_eq_u32_sdwa s[0:1], v3, v2 src0_sel:WORD_0 src1_sel:DWORD
	v_cndmask_b32_e64 v2, v8, v3, s[0:1]
; %bb.126:
	s_or_b64 exec, exec, s[2:3]
	v_and_b32_e32 v3, 0xffff0000, v4
	v_and_b32_e32 v4, 0xffff0000, v5
	v_fmac_f32_e32 v3, v4, v1
	s_mov_b32 s0, 0x7f800000
	v_and_b32_e32 v1, 0x7f800000, v3
	v_cmp_ne_u32_e64 s[0:1], s0, v1
                                        ; implicit-def: $vgpr1
	s_and_saveexec_b64 s[2:3], s[0:1]
	s_xor_b64 s[0:1], exec, s[2:3]
; %bb.127:
	v_bfe_u32 v1, v3, 16, 1
	s_movk_i32 s2, 0x7fff
	v_add3_u32 v1, v3, v1, s2
                                        ; implicit-def: $vgpr3
; %bb.128:
	s_andn2_saveexec_b64 s[2:3], s[0:1]
; %bb.129:
	v_mov_b32_e32 v1, 0
	v_or_b32_e32 v4, 0x10000, v3
	v_cmp_eq_u32_sdwa s[0:1], v3, v1 src0_sel:WORD_0 src1_sel:DWORD
	v_cndmask_b32_e64 v1, v4, v3, s[0:1]
; %bb.130:
	s_or_b64 exec, exec, s[2:3]
	v_and_b32_e32 v3, 0xffff0000, v6
	v_and_b32_e32 v4, 0xffff0000, v7
	v_add_f32_e32 v3, v3, v4
	v_cndmask_b32_e32 v4, 0, v3, vcc
	v_and_b32_e32 v3, 0xffff0000, v10
	v_and_b32_e32 v5, 0xffff0000, v11
	v_add_f32_e32 v3, v3, v5
	v_cndmask_b32_e32 v9, 0, v3, vcc
	;; [unrolled: 4-line block ×3, first 2 shown]
	v_and_b32_e32 v3, 0xffff0000, v1
	v_mbcnt_lo_u32_b32 v1, -1, 0
	v_mbcnt_hi_u32_b32 v14, -1, v1
	v_and_b32_e32 v2, 0xffff0000, v2
	v_mov_b32_e32 v6, v3
	v_and_b32_e32 v1, 64, v14
	v_pk_add_f32 v[2:3], v[6:7], v[2:3] op_sel_hi:[0,1]
	v_add_u32_e32 v15, 64, v1
	v_xor_b32_e32 v1, 32, v14
	v_cndmask_b32_e32 v5, 0, v2, vcc
	v_cmp_lt_i32_e32 vcc, v1, v15
	v_cndmask_b32_e32 v1, v14, v1, vcc
	v_lshlrev_b32_e32 v1, 2, v1
	ds_bpermute_b32 v2, v1, v8
	ds_bpermute_b32 v3, v1, v9
	;; [unrolled: 1-line block ×4, first 2 shown]
	v_xor_b32_e32 v1, 16, v14
	v_cmp_lt_i32_e32 vcc, v1, v15
	v_cndmask_b32_e32 v1, v14, v1, vcc
	v_lshlrev_b32_e32 v1, 2, v1
	s_waitcnt lgkmcnt(2)
	v_pk_add_f32 v[2:3], v[8:9], v[2:3]
	s_waitcnt lgkmcnt(0)
	v_pk_add_f32 v[4:5], v[4:5], v[10:11]
	ds_bpermute_b32 v8, v1, v2
	ds_bpermute_b32 v9, v1, v3
	;; [unrolled: 1-line block ×4, first 2 shown]
	v_xor_b32_e32 v6, 8, v14
	v_cmp_lt_i32_e32 vcc, v6, v15
	v_cndmask_b32_e32 v6, v14, v6, vcc
	v_lshlrev_b32_e32 v6, 2, v6
	s_waitcnt lgkmcnt(2)
	v_pk_add_f32 v[2:3], v[2:3], v[8:9]
	s_waitcnt lgkmcnt(0)
	v_pk_add_f32 v[4:5], v[4:5], v[10:11]
	ds_bpermute_b32 v8, v6, v2
	ds_bpermute_b32 v9, v6, v3
	;; [unrolled: 1-line block ×4, first 2 shown]
	v_xor_b32_e32 v7, 4, v14
	v_cmp_lt_i32_e32 vcc, v7, v15
	v_cndmask_b32_e32 v7, v14, v7, vcc
	v_xor_b32_e32 v12, 2, v14
	v_lshlrev_b32_e32 v7, 2, v7
	v_cmp_lt_i32_e32 vcc, v12, v15
	s_waitcnt lgkmcnt(2)
	v_pk_add_f32 v[2:3], v[2:3], v[8:9]
	s_waitcnt lgkmcnt(0)
	v_pk_add_f32 v[4:5], v[4:5], v[10:11]
	v_cndmask_b32_e32 v16, v14, v12, vcc
	ds_bpermute_b32 v12, v7, v2
	ds_bpermute_b32 v13, v7, v3
	;; [unrolled: 1-line block ×4, first 2 shown]
	v_lshlrev_b32_e32 v8, 2, v16
	v_xor_b32_e32 v9, 1, v14
	s_waitcnt lgkmcnt(2)
	v_pk_add_f32 v[2:3], v[2:3], v[12:13]
	ds_bpermute_b32 v12, v8, v2
	s_waitcnt lgkmcnt(1)
	v_pk_add_f32 v[4:5], v[4:5], v[10:11]
	ds_bpermute_b32 v13, v8, v3
	ds_bpermute_b32 v10, v8, v4
	;; [unrolled: 1-line block ×3, first 2 shown]
	v_cmp_lt_i32_e32 vcc, v9, v15
	v_cndmask_b32_e32 v9, v14, v9, vcc
	s_waitcnt lgkmcnt(2)
	v_pk_add_f32 v[2:3], v[2:3], v[12:13]
	v_lshlrev_b32_e32 v9, 2, v9
	s_waitcnt lgkmcnt(0)
	v_pk_add_f32 v[4:5], v[4:5], v[10:11]
	ds_bpermute_b32 v11, v9, v2
	ds_bpermute_b32 v14, v9, v3
	;; [unrolled: 1-line block ×4, first 2 shown]
	v_and_b32_e32 v13, 63, v0
	v_cmp_gt_u32_e32 vcc, 4, v13
	s_and_saveexec_b64 s[8:9], vcc
	s_cbranch_execz .LBB5_132
; %bb.131:
	v_cmp_eq_u32_e32 vcc, 1, v13
	s_waitcnt lgkmcnt(2)
	v_cndmask_b32_e32 v11, v11, v14, vcc
	v_cmp_eq_u32_e64 s[0:1], 2, v13
	v_cndmask_b32_e32 v2, v2, v3, vcc
	v_lshrrev_b32_e32 v15, 4, v0
	s_waitcnt lgkmcnt(1)
	v_cndmask_b32_e64 v11, v11, v12, s[0:1]
	v_cmp_eq_u32_e64 s[2:3], 3, v13
	v_cndmask_b32_e64 v2, v2, v4, s[0:1]
	v_and_b32_e32 v15, 60, v15
	s_waitcnt lgkmcnt(0)
	v_cndmask_b32_e64 v10, v11, v10, s[2:3]
	v_cndmask_b32_e64 v2, v2, v5, s[2:3]
	v_lshl_or_b32 v15, v13, 8, v15
	v_add_f32_e32 v2, v2, v10
	ds_write_b32 v15, v2
.LBB5_132:
	s_or_b64 exec, exec, s[8:9]
	v_cmp_gt_u32_e32 vcc, 64, v0
	s_waitcnt lgkmcnt(0)
	s_barrier
	s_and_saveexec_b64 s[0:1], vcc
	s_cbranch_execz .LBB5_145
; %bb.133:
	s_load_dword s0, s[4:5], 0x2c
	v_and_b32_e32 v3, 15, v0
	v_mov_b32_e32 v2, 0
	s_waitcnt lgkmcnt(0)
	s_and_b32 s0, 0xffff, s0
	s_lshr_b32 s0, s0, 6
	v_cmp_gt_u32_e32 vcc, s0, v3
	s_and_saveexec_b64 s[0:1], vcc
	s_cbranch_execz .LBB5_135
; %bb.134:
	v_lshlrev_b32_e32 v2, 2, v3
	v_lshlrev_b32_e32 v3, 4, v0
	s_movk_i32 s2, 0x3f00
	v_and_or_b32 v2, v3, s2, v2
	ds_read_b32 v2, v2
.LBB5_135:
	s_or_b64 exec, exec, s[0:1]
	s_waitcnt lgkmcnt(0)
	ds_bpermute_b32 v3, v6, v2
	s_waitcnt lgkmcnt(0)
	v_add_f32_e32 v2, v2, v3
	ds_bpermute_b32 v3, v7, v2
	s_waitcnt lgkmcnt(0)
	v_add_f32_e32 v2, v2, v3
	;; [unrolled: 3-line block ×4, first 2 shown]
	ds_bpermute_b32 v2, v1, v3
	v_and_b32_e32 v1, 31, v0
	v_cmp_eq_u32_e32 vcc, 0, v1
	s_and_b64 exec, exec, vcc
	s_cbranch_execz .LBB5_145
; %bb.136:
	s_mov_b32 s0, 0x7f800000
	v_and_b32_e32 v1, 0x7f800000, v3
	v_cmp_ne_u32_e32 vcc, s0, v1
                                        ; implicit-def: $vgpr1
	s_and_saveexec_b64 s[0:1], vcc
	s_xor_b64 s[0:1], exec, s[0:1]
; %bb.137:
	v_bfe_u32 v1, v3, 16, 1
	s_movk_i32 s2, 0x7fff
	v_add3_u32 v1, v3, v1, s2
                                        ; implicit-def: $vgpr3
; %bb.138:
	s_andn2_saveexec_b64 s[0:1], s[0:1]
; %bb.139:
	v_mov_b32_e32 v1, 0
	v_or_b32_e32 v4, 0x10000, v3
	v_cmp_eq_u32_sdwa vcc, v3, v1 src0_sel:WORD_0 src1_sel:DWORD
	v_cndmask_b32_e32 v1, v4, v3, vcc
; %bb.140:
	s_or_b64 exec, exec, s[0:1]
	s_mov_b32 s0, 0x7f800000
	s_waitcnt lgkmcnt(0)
	v_and_b32_e32 v3, 0x7f800000, v2
	v_cmp_ne_u32_e32 vcc, s0, v3
                                        ; implicit-def: $vgpr3
	s_and_saveexec_b64 s[0:1], vcc
	s_xor_b64 s[0:1], exec, s[0:1]
; %bb.141:
	v_bfe_u32 v3, v2, 16, 1
	s_movk_i32 s2, 0x7fff
	v_add3_u32 v3, v2, v3, s2
                                        ; implicit-def: $vgpr2
; %bb.142:
	s_andn2_saveexec_b64 s[0:1], s[0:1]
; %bb.143:
	v_mov_b32_e32 v3, 0
	v_or_b32_e32 v4, 0x10000, v2
	v_cmp_eq_u32_sdwa vcc, v2, v3 src0_sel:WORD_0 src1_sel:DWORD
	v_cndmask_b32_e32 v3, v4, v2, vcc
; %bb.144:
	s_or_b64 exec, exec, s[0:1]
	s_lshl_b32 s0, s6, 1
	s_and_b32 s0, s0, 0x7ffffffe
	v_lshrrev_b32_e32 v0, 5, v0
	v_or_b32_e32 v4, s0, v0
	v_mov_b32_e32 v5, 0
	v_lshlrev_b64 v[4:5], 2, v[4:5]
	v_mov_b32_e32 v0, s13
	v_add_co_u32_e32 v4, vcc, s12, v4
	s_mov_b32 s0, 0x7060302
	v_addc_co_u32_e32 v5, vcc, v0, v5, vcc
	v_perm_b32 v0, v3, v1, s0
	global_store_dword v[4:5], v0, off
.LBB5_145:
	s_endpgm
	.section	.rodata,"a",@progbits
	.p2align	6, 0x0
	.amdhsa_kernel _Z14LLGemm1_kernelIN3c108BFloat16ELi4EEvPKT_S4_PS2_i
		.amdhsa_group_segment_fixed_size 1024
		.amdhsa_private_segment_fixed_size 0
		.amdhsa_kernarg_size 288
		.amdhsa_user_sgpr_count 6
		.amdhsa_user_sgpr_private_segment_buffer 1
		.amdhsa_user_sgpr_dispatch_ptr 0
		.amdhsa_user_sgpr_queue_ptr 0
		.amdhsa_user_sgpr_kernarg_segment_ptr 1
		.amdhsa_user_sgpr_dispatch_id 0
		.amdhsa_user_sgpr_flat_scratch_init 0
		.amdhsa_user_sgpr_kernarg_preload_length 0
		.amdhsa_user_sgpr_kernarg_preload_offset 0
		.amdhsa_user_sgpr_private_segment_size 0
		.amdhsa_uses_dynamic_stack 0
		.amdhsa_system_sgpr_private_segment_wavefront_offset 0
		.amdhsa_system_sgpr_workgroup_id_x 1
		.amdhsa_system_sgpr_workgroup_id_y 0
		.amdhsa_system_sgpr_workgroup_id_z 0
		.amdhsa_system_sgpr_workgroup_info 0
		.amdhsa_system_vgpr_workitem_id 0
		.amdhsa_next_free_vgpr 28
		.amdhsa_next_free_sgpr 16
		.amdhsa_accum_offset 28
		.amdhsa_reserve_vcc 1
		.amdhsa_reserve_flat_scratch 0
		.amdhsa_float_round_mode_32 0
		.amdhsa_float_round_mode_16_64 0
		.amdhsa_float_denorm_mode_32 3
		.amdhsa_float_denorm_mode_16_64 3
		.amdhsa_dx10_clamp 1
		.amdhsa_ieee_mode 1
		.amdhsa_fp16_overflow 0
		.amdhsa_tg_split 0
		.amdhsa_exception_fp_ieee_invalid_op 0
		.amdhsa_exception_fp_denorm_src 0
		.amdhsa_exception_fp_ieee_div_zero 0
		.amdhsa_exception_fp_ieee_overflow 0
		.amdhsa_exception_fp_ieee_underflow 0
		.amdhsa_exception_fp_ieee_inexact 0
		.amdhsa_exception_int_div_zero 0
	.end_amdhsa_kernel
	.section	.text._Z14LLGemm1_kernelIN3c108BFloat16ELi4EEvPKT_S4_PS2_i,"axG",@progbits,_Z14LLGemm1_kernelIN3c108BFloat16ELi4EEvPKT_S4_PS2_i,comdat
.Lfunc_end5:
	.size	_Z14LLGemm1_kernelIN3c108BFloat16ELi4EEvPKT_S4_PS2_i, .Lfunc_end5-_Z14LLGemm1_kernelIN3c108BFloat16ELi4EEvPKT_S4_PS2_i
                                        ; -- End function
	.section	.AMDGPU.csdata,"",@progbits
; Kernel info:
; codeLenInByte = 4740
; NumSgprs: 20
; NumVgprs: 28
; NumAgprs: 0
; TotalNumVgprs: 28
; ScratchSize: 0
; MemoryBound: 0
; FloatMode: 240
; IeeeMode: 1
; LDSByteSize: 1024 bytes/workgroup (compile time only)
; SGPRBlocks: 2
; VGPRBlocks: 3
; NumSGPRsForWavesPerEU: 20
; NumVGPRsForWavesPerEU: 28
; AccumOffset: 28
; Occupancy: 8
; WaveLimiterHint : 0
; COMPUTE_PGM_RSRC2:SCRATCH_EN: 0
; COMPUTE_PGM_RSRC2:USER_SGPR: 6
; COMPUTE_PGM_RSRC2:TRAP_HANDLER: 0
; COMPUTE_PGM_RSRC2:TGID_X_EN: 1
; COMPUTE_PGM_RSRC2:TGID_Y_EN: 0
; COMPUTE_PGM_RSRC2:TGID_Z_EN: 0
; COMPUTE_PGM_RSRC2:TIDIG_COMP_CNT: 0
; COMPUTE_PGM_RSRC3_GFX90A:ACCUM_OFFSET: 6
; COMPUTE_PGM_RSRC3_GFX90A:TG_SPLIT: 0
	.section	.text._Z14LLGemm1_kernelIN3c108BFloat16ELi8EEvPKT_S4_PS2_i,"axG",@progbits,_Z14LLGemm1_kernelIN3c108BFloat16ELi8EEvPKT_S4_PS2_i,comdat
	.protected	_Z14LLGemm1_kernelIN3c108BFloat16ELi8EEvPKT_S4_PS2_i ; -- Begin function _Z14LLGemm1_kernelIN3c108BFloat16ELi8EEvPKT_S4_PS2_i
	.globl	_Z14LLGemm1_kernelIN3c108BFloat16ELi8EEvPKT_S4_PS2_i
	.p2align	8
	.type	_Z14LLGemm1_kernelIN3c108BFloat16ELi8EEvPKT_S4_PS2_i,@function
_Z14LLGemm1_kernelIN3c108BFloat16ELi8EEvPKT_S4_PS2_i: ; @_Z14LLGemm1_kernelIN3c108BFloat16ELi8EEvPKT_S4_PS2_i
; %bb.0:
	s_load_dword s0, s[4:5], 0x18
	s_load_dwordx4 s[8:11], s[4:5], 0x0
	s_load_dwordx2 s[2:3], s[4:5], 0x10
	v_lshlrev_b32_e32 v1, 3, v0
	s_mov_b32 s15, 0
	s_waitcnt lgkmcnt(0)
	v_cmp_gt_i32_e32 vcc, s0, v1
	v_mov_b32_e32 v34, 0
	v_mov_b32_e32 v1, 0
	;; [unrolled: 1-line block ×8, first 2 shown]
                                        ; implicit-def: $vgpr2
                                        ; implicit-def: $vgpr6
                                        ; implicit-def: $vgpr10
                                        ; implicit-def: $vgpr14
                                        ; implicit-def: $vgpr18
                                        ; implicit-def: $vgpr22
                                        ; implicit-def: $vgpr26
                                        ; implicit-def: $vgpr30
	s_and_saveexec_b64 s[12:13], vcc
	s_cbranch_execz .LBB6_2
; %bb.1:
	s_mul_i32 s1, s6, s0
	s_and_b32 s1, s1, 0x1fffffff
	v_add_u32_e32 v2, s1, v0
	v_mov_b32_e32 v3, 0
	v_lshlrev_b64 v[4:5], 4, v[2:3]
	s_lshr_b32 s14, s0, 3
	v_mov_b32_e32 v1, s9
	v_add_co_u32_e64 v4, s[0:1], s8, v4
	v_addc_co_u32_e64 v5, s[0:1], v1, v5, s[0:1]
	s_lshl_b64 s[0:1], s[14:15], 4
	v_mov_b32_e32 v1, s1
	v_add_co_u32_e64 v6, s[0:1], s0, v4
	v_addc_co_u32_e64 v7, s[0:1], v5, v1, s[0:1]
	s_add_i32 s0, s14, s14
	v_add_u32_e32 v2, s0, v2
	global_load_dwordx4 v[30:33], v[4:5], off glc slc
	global_load_dwordx4 v[26:29], v[6:7], off glc slc
	v_lshlrev_b64 v[4:5], 4, v[2:3]
	v_mov_b32_e32 v1, s9
	v_add_co_u32_e64 v4, s[0:1], s8, v4
	v_add_u32_e32 v2, s14, v2
	v_addc_co_u32_e64 v5, s[0:1], v1, v5, s[0:1]
	v_lshlrev_b64 v[6:7], 4, v[2:3]
	v_add_co_u32_e64 v6, s[0:1], s8, v6
	v_add_u32_e32 v2, s14, v2
	v_addc_co_u32_e64 v7, s[0:1], v1, v7, s[0:1]
	global_load_dwordx4 v[22:25], v[4:5], off glc slc
	global_load_dwordx4 v[18:21], v[6:7], off glc slc
	v_lshlrev_b64 v[4:5], 4, v[2:3]
	v_add_co_u32_e64 v4, s[0:1], s8, v4
	v_add_u32_e32 v2, s14, v2
	v_addc_co_u32_e64 v5, s[0:1], v1, v5, s[0:1]
	v_lshlrev_b64 v[6:7], 4, v[2:3]
	v_add_co_u32_e64 v6, s[0:1], s8, v6
	v_add_u32_e32 v2, s14, v2
	v_addc_co_u32_e64 v7, s[0:1], v1, v7, s[0:1]
	global_load_dwordx4 v[14:17], v[4:5], off glc slc
	global_load_dwordx4 v[10:13], v[6:7], off glc slc
	v_lshlrev_b64 v[4:5], 4, v[2:3]
	v_add_co_u32_e64 v34, s[0:1], s8, v4
	v_add_u32_e32 v2, s14, v2
	v_addc_co_u32_e64 v35, s[0:1], v1, v5, s[0:1]
	v_lshlrev_b32_e32 v1, 4, v0
	v_lshlrev_b64 v[2:3], 4, v[2:3]
	global_load_dwordx4 v[40:43], v1, s[10:11]
	v_mov_b32_e32 v1, s9
	v_add_co_u32_e64 v36, s[0:1], s8, v2
	v_addc_co_u32_e64 v37, s[0:1], v1, v3, s[0:1]
	global_load_dwordx4 v[6:9], v[34:35], off glc slc
	global_load_dwordx4 v[2:5], v[36:37], off glc slc
	s_waitcnt vmcnt(2)
	v_and_b32_e32 v39, 0xffff0000, v40
	v_lshlrev_b32_e32 v40, 16, v40
	v_and_b32_e32 v37, 0xffff0000, v41
	v_lshlrev_b32_e32 v38, 16, v41
	;; [unrolled: 2-line block ×4, first 2 shown]
.LBB6_2:
	s_or_b64 exec, exec, s[12:13]
	v_lshlrev_b32_e32 v41, 16, v30
	v_mul_f32_e32 v42, v40, v41
	s_mov_b32 s0, 0x7f800000
	v_and_b32_e32 v41, 0x7f800000, v42
	v_cmp_ne_u32_e64 s[0:1], s0, v41
                                        ; implicit-def: $vgpr41
	s_and_saveexec_b64 s[8:9], s[0:1]
	s_xor_b64 s[0:1], exec, s[8:9]
; %bb.3:
	v_bfe_u32 v41, v42, 16, 1
	s_movk_i32 s7, 0x7fff
	v_add3_u32 v41, v42, v41, s7
                                        ; implicit-def: $vgpr42
; %bb.4:
	s_andn2_saveexec_b64 s[8:9], s[0:1]
; %bb.5:
	v_mov_b32_e32 v41, 0
	v_or_b32_e32 v43, 0x10000, v42
	v_cmp_eq_u32_sdwa s[0:1], v42, v41 src0_sel:WORD_0 src1_sel:DWORD
	v_cndmask_b32_e64 v41, v43, v42, s[0:1]
; %bb.6:
	s_or_b64 exec, exec, s[8:9]
	v_and_b32_e32 v30, 0xffff0000, v30
	v_mul_f32_e32 v42, v39, v30
	s_mov_b32 s0, 0x7f800000
	v_and_b32_e32 v30, 0x7f800000, v42
	v_cmp_ne_u32_e64 s[0:1], s0, v30
                                        ; implicit-def: $vgpr30
	s_and_saveexec_b64 s[8:9], s[0:1]
	s_xor_b64 s[0:1], exec, s[8:9]
; %bb.7:
	v_bfe_u32 v30, v42, 16, 1
	s_movk_i32 s7, 0x7fff
	v_add3_u32 v30, v42, v30, s7
                                        ; implicit-def: $vgpr42
; %bb.8:
	s_andn2_saveexec_b64 s[8:9], s[0:1]
; %bb.9:
	v_mov_b32_e32 v30, 0
	v_or_b32_e32 v43, 0x10000, v42
	v_cmp_eq_u32_sdwa s[0:1], v42, v30 src0_sel:WORD_0 src1_sel:DWORD
	v_cndmask_b32_e64 v30, v43, v42, s[0:1]
; %bb.10:
	s_or_b64 exec, exec, s[8:9]
	v_and_b32_e32 v42, 0xffff0000, v41
	v_lshlrev_b32_e32 v41, 16, v31
	v_fmac_f32_e32 v42, v41, v38
	s_mov_b32 s0, 0x7f800000
	v_and_b32_e32 v41, 0x7f800000, v42
	v_cmp_ne_u32_e64 s[0:1], s0, v41
                                        ; implicit-def: $vgpr41
	s_and_saveexec_b64 s[8:9], s[0:1]
	s_xor_b64 s[0:1], exec, s[8:9]
; %bb.11:
	v_bfe_u32 v41, v42, 16, 1
	s_movk_i32 s7, 0x7fff
	v_add3_u32 v41, v42, v41, s7
                                        ; implicit-def: $vgpr42
; %bb.12:
	s_andn2_saveexec_b64 s[8:9], s[0:1]
; %bb.13:
	v_mov_b32_e32 v41, 0
	v_or_b32_e32 v43, 0x10000, v42
	v_cmp_eq_u32_sdwa s[0:1], v42, v41 src0_sel:WORD_0 src1_sel:DWORD
	v_cndmask_b32_e64 v41, v43, v42, s[0:1]
; %bb.14:
	s_or_b64 exec, exec, s[8:9]
	v_and_b32_e32 v42, 0xffff0000, v30
	v_and_b32_e32 v30, 0xffff0000, v31
	v_fmac_f32_e32 v42, v30, v37
	s_mov_b32 s0, 0x7f800000
	v_and_b32_e32 v30, 0x7f800000, v42
	v_cmp_ne_u32_e64 s[0:1], s0, v30
                                        ; implicit-def: $vgpr30
	s_and_saveexec_b64 s[8:9], s[0:1]
	s_xor_b64 s[0:1], exec, s[8:9]
; %bb.15:
	v_bfe_u32 v30, v42, 16, 1
	s_movk_i32 s7, 0x7fff
	v_add3_u32 v30, v42, v30, s7
                                        ; implicit-def: $vgpr42
; %bb.16:
	s_andn2_saveexec_b64 s[8:9], s[0:1]
; %bb.17:
	v_mov_b32_e32 v30, 0
	v_or_b32_e32 v31, 0x10000, v42
	v_cmp_eq_u32_sdwa s[0:1], v42, v30 src0_sel:WORD_0 src1_sel:DWORD
	v_cndmask_b32_e64 v30, v31, v42, s[0:1]
; %bb.18:
	s_or_b64 exec, exec, s[8:9]
	v_and_b32_e32 v41, 0xffff0000, v41
	v_lshlrev_b32_e32 v31, 16, v32
	v_fmac_f32_e32 v41, v31, v36
	s_mov_b32 s0, 0x7f800000
	v_and_b32_e32 v31, 0x7f800000, v41
	v_cmp_ne_u32_e64 s[0:1], s0, v31
                                        ; implicit-def: $vgpr31
	s_and_saveexec_b64 s[8:9], s[0:1]
	s_xor_b64 s[0:1], exec, s[8:9]
; %bb.19:
	v_bfe_u32 v31, v41, 16, 1
	s_movk_i32 s7, 0x7fff
	v_add3_u32 v31, v41, v31, s7
                                        ; implicit-def: $vgpr41
; %bb.20:
	s_andn2_saveexec_b64 s[8:9], s[0:1]
; %bb.21:
	v_mov_b32_e32 v31, 0
	v_or_b32_e32 v42, 0x10000, v41
	v_cmp_eq_u32_sdwa s[0:1], v41, v31 src0_sel:WORD_0 src1_sel:DWORD
	v_cndmask_b32_e64 v31, v42, v41, s[0:1]
; %bb.22:
	s_or_b64 exec, exec, s[8:9]
	v_and_b32_e32 v30, 0xffff0000, v30
	v_and_b32_e32 v32, 0xffff0000, v32
	v_fmac_f32_e32 v30, v32, v35
	s_mov_b32 s0, 0x7f800000
	v_and_b32_e32 v32, 0x7f800000, v30
	v_cmp_ne_u32_e64 s[0:1], s0, v32
                                        ; implicit-def: $vgpr32
	s_and_saveexec_b64 s[8:9], s[0:1]
	s_xor_b64 s[0:1], exec, s[8:9]
; %bb.23:
	v_bfe_u32 v32, v30, 16, 1
	s_movk_i32 s7, 0x7fff
	v_add3_u32 v32, v30, v32, s7
                                        ; implicit-def: $vgpr30
; %bb.24:
	s_andn2_saveexec_b64 s[8:9], s[0:1]
; %bb.25:
	v_mov_b32_e32 v32, 0
	v_or_b32_e32 v41, 0x10000, v30
	v_cmp_eq_u32_sdwa s[0:1], v30, v32 src0_sel:WORD_0 src1_sel:DWORD
	v_cndmask_b32_e64 v32, v41, v30, s[0:1]
; %bb.26:
	s_or_b64 exec, exec, s[8:9]
	v_and_b32_e32 v31, 0xffff0000, v31
	v_lshlrev_b32_e32 v30, 16, v33
	v_fmac_f32_e32 v31, v30, v34
	s_mov_b32 s0, 0x7f800000
	v_and_b32_e32 v30, 0x7f800000, v31
	v_cmp_ne_u32_e64 s[0:1], s0, v30
                                        ; implicit-def: $vgpr30
	s_and_saveexec_b64 s[8:9], s[0:1]
	s_xor_b64 s[0:1], exec, s[8:9]
; %bb.27:
	v_bfe_u32 v30, v31, 16, 1
	s_movk_i32 s7, 0x7fff
	v_add3_u32 v30, v31, v30, s7
                                        ; implicit-def: $vgpr31
; %bb.28:
	s_andn2_saveexec_b64 s[8:9], s[0:1]
; %bb.29:
	v_mov_b32_e32 v30, 0
	v_or_b32_e32 v41, 0x10000, v31
	v_cmp_eq_u32_sdwa s[0:1], v31, v30 src0_sel:WORD_0 src1_sel:DWORD
	v_cndmask_b32_e64 v30, v41, v31, s[0:1]
; %bb.30:
	s_or_b64 exec, exec, s[8:9]
	v_and_b32_e32 v32, 0xffff0000, v32
	v_and_b32_e32 v31, 0xffff0000, v33
	v_fmac_f32_e32 v32, v31, v1
	s_mov_b32 s0, 0x7f800000
	v_and_b32_e32 v31, 0x7f800000, v32
	v_cmp_ne_u32_e64 s[0:1], s0, v31
                                        ; implicit-def: $vgpr31
	s_and_saveexec_b64 s[8:9], s[0:1]
	s_xor_b64 s[0:1], exec, s[8:9]
; %bb.31:
	v_bfe_u32 v31, v32, 16, 1
	s_movk_i32 s7, 0x7fff
	v_add3_u32 v31, v32, v31, s7
                                        ; implicit-def: $vgpr32
; %bb.32:
	s_andn2_saveexec_b64 s[8:9], s[0:1]
; %bb.33:
	v_mov_b32_e32 v31, 0
	v_or_b32_e32 v33, 0x10000, v32
	v_cmp_eq_u32_sdwa s[0:1], v32, v31 src0_sel:WORD_0 src1_sel:DWORD
	v_cndmask_b32_e64 v31, v33, v32, s[0:1]
; %bb.34:
	s_or_b64 exec, exec, s[8:9]
	v_lshlrev_b32_e32 v32, 16, v26
	v_mul_f32_e32 v33, v40, v32
	s_mov_b32 s0, 0x7f800000
	v_and_b32_e32 v32, 0x7f800000, v33
	v_cmp_ne_u32_e64 s[0:1], s0, v32
                                        ; implicit-def: $vgpr32
	s_and_saveexec_b64 s[8:9], s[0:1]
	s_xor_b64 s[0:1], exec, s[8:9]
; %bb.35:
	v_bfe_u32 v32, v33, 16, 1
	s_movk_i32 s7, 0x7fff
	v_add3_u32 v32, v33, v32, s7
                                        ; implicit-def: $vgpr33
; %bb.36:
	s_andn2_saveexec_b64 s[8:9], s[0:1]
; %bb.37:
	v_mov_b32_e32 v32, 0
	v_or_b32_e32 v41, 0x10000, v33
	v_cmp_eq_u32_sdwa s[0:1], v33, v32 src0_sel:WORD_0 src1_sel:DWORD
	v_cndmask_b32_e64 v32, v41, v33, s[0:1]
; %bb.38:
	s_or_b64 exec, exec, s[8:9]
	v_and_b32_e32 v26, 0xffff0000, v26
	v_mul_f32_e32 v33, v39, v26
	s_mov_b32 s0, 0x7f800000
	v_and_b32_e32 v26, 0x7f800000, v33
	v_cmp_ne_u32_e64 s[0:1], s0, v26
                                        ; implicit-def: $vgpr26
	s_and_saveexec_b64 s[8:9], s[0:1]
	s_xor_b64 s[0:1], exec, s[8:9]
; %bb.39:
	v_bfe_u32 v26, v33, 16, 1
	s_movk_i32 s7, 0x7fff
	v_add3_u32 v26, v33, v26, s7
                                        ; implicit-def: $vgpr33
; %bb.40:
	s_andn2_saveexec_b64 s[8:9], s[0:1]
; %bb.41:
	v_mov_b32_e32 v26, 0
	v_or_b32_e32 v41, 0x10000, v33
	v_cmp_eq_u32_sdwa s[0:1], v33, v26 src0_sel:WORD_0 src1_sel:DWORD
	v_cndmask_b32_e64 v26, v41, v33, s[0:1]
; %bb.42:
	s_or_b64 exec, exec, s[8:9]
	v_and_b32_e32 v33, 0xffff0000, v32
	v_lshlrev_b32_e32 v32, 16, v27
	v_fmac_f32_e32 v33, v32, v38
	s_mov_b32 s0, 0x7f800000
	v_and_b32_e32 v32, 0x7f800000, v33
	v_cmp_ne_u32_e64 s[0:1], s0, v32
                                        ; implicit-def: $vgpr32
	s_and_saveexec_b64 s[8:9], s[0:1]
	s_xor_b64 s[0:1], exec, s[8:9]
; %bb.43:
	v_bfe_u32 v32, v33, 16, 1
	s_movk_i32 s7, 0x7fff
	v_add3_u32 v32, v33, v32, s7
                                        ; implicit-def: $vgpr33
; %bb.44:
	s_andn2_saveexec_b64 s[8:9], s[0:1]
; %bb.45:
	v_mov_b32_e32 v32, 0
	v_or_b32_e32 v41, 0x10000, v33
	v_cmp_eq_u32_sdwa s[0:1], v33, v32 src0_sel:WORD_0 src1_sel:DWORD
	v_cndmask_b32_e64 v32, v41, v33, s[0:1]
; %bb.46:
	s_or_b64 exec, exec, s[8:9]
	v_and_b32_e32 v33, 0xffff0000, v26
	v_and_b32_e32 v26, 0xffff0000, v27
	v_fmac_f32_e32 v33, v26, v37
	s_mov_b32 s0, 0x7f800000
	v_and_b32_e32 v26, 0x7f800000, v33
	v_cmp_ne_u32_e64 s[0:1], s0, v26
                                        ; implicit-def: $vgpr26
	s_and_saveexec_b64 s[8:9], s[0:1]
	s_xor_b64 s[0:1], exec, s[8:9]
; %bb.47:
	v_bfe_u32 v26, v33, 16, 1
	s_movk_i32 s7, 0x7fff
	v_add3_u32 v26, v33, v26, s7
                                        ; implicit-def: $vgpr33
; %bb.48:
	s_andn2_saveexec_b64 s[8:9], s[0:1]
; %bb.49:
	v_mov_b32_e32 v26, 0
	v_or_b32_e32 v27, 0x10000, v33
	v_cmp_eq_u32_sdwa s[0:1], v33, v26 src0_sel:WORD_0 src1_sel:DWORD
	v_cndmask_b32_e64 v26, v27, v33, s[0:1]
; %bb.50:
	s_or_b64 exec, exec, s[8:9]
	v_and_b32_e32 v32, 0xffff0000, v32
	v_lshlrev_b32_e32 v27, 16, v28
	v_fmac_f32_e32 v32, v27, v36
	s_mov_b32 s0, 0x7f800000
	v_and_b32_e32 v27, 0x7f800000, v32
	v_cmp_ne_u32_e64 s[0:1], s0, v27
                                        ; implicit-def: $vgpr27
	s_and_saveexec_b64 s[8:9], s[0:1]
	s_xor_b64 s[0:1], exec, s[8:9]
; %bb.51:
	v_bfe_u32 v27, v32, 16, 1
	s_movk_i32 s7, 0x7fff
	v_add3_u32 v27, v32, v27, s7
                                        ; implicit-def: $vgpr32
; %bb.52:
	s_andn2_saveexec_b64 s[8:9], s[0:1]
; %bb.53:
	v_mov_b32_e32 v27, 0
	v_or_b32_e32 v33, 0x10000, v32
	v_cmp_eq_u32_sdwa s[0:1], v32, v27 src0_sel:WORD_0 src1_sel:DWORD
	v_cndmask_b32_e64 v27, v33, v32, s[0:1]
; %bb.54:
	s_or_b64 exec, exec, s[8:9]
	v_and_b32_e32 v26, 0xffff0000, v26
	v_and_b32_e32 v28, 0xffff0000, v28
	v_fmac_f32_e32 v26, v28, v35
	s_mov_b32 s0, 0x7f800000
	v_and_b32_e32 v28, 0x7f800000, v26
	v_cmp_ne_u32_e64 s[0:1], s0, v28
                                        ; implicit-def: $vgpr28
	s_and_saveexec_b64 s[8:9], s[0:1]
	s_xor_b64 s[0:1], exec, s[8:9]
; %bb.55:
	v_bfe_u32 v28, v26, 16, 1
	s_movk_i32 s7, 0x7fff
	v_add3_u32 v28, v26, v28, s7
                                        ; implicit-def: $vgpr26
; %bb.56:
	s_andn2_saveexec_b64 s[8:9], s[0:1]
; %bb.57:
	v_mov_b32_e32 v28, 0
	v_or_b32_e32 v32, 0x10000, v26
	v_cmp_eq_u32_sdwa s[0:1], v26, v28 src0_sel:WORD_0 src1_sel:DWORD
	v_cndmask_b32_e64 v28, v32, v26, s[0:1]
; %bb.58:
	s_or_b64 exec, exec, s[8:9]
	v_and_b32_e32 v27, 0xffff0000, v27
	v_lshlrev_b32_e32 v26, 16, v29
	v_fmac_f32_e32 v27, v26, v34
	s_mov_b32 s0, 0x7f800000
	v_and_b32_e32 v26, 0x7f800000, v27
	v_cmp_ne_u32_e64 s[0:1], s0, v26
                                        ; implicit-def: $vgpr26
	s_and_saveexec_b64 s[8:9], s[0:1]
	s_xor_b64 s[0:1], exec, s[8:9]
; %bb.59:
	v_bfe_u32 v26, v27, 16, 1
	s_movk_i32 s7, 0x7fff
	v_add3_u32 v26, v27, v26, s7
                                        ; implicit-def: $vgpr27
; %bb.60:
	s_andn2_saveexec_b64 s[8:9], s[0:1]
; %bb.61:
	v_mov_b32_e32 v26, 0
	v_or_b32_e32 v32, 0x10000, v27
	v_cmp_eq_u32_sdwa s[0:1], v27, v26 src0_sel:WORD_0 src1_sel:DWORD
	v_cndmask_b32_e64 v26, v32, v27, s[0:1]
; %bb.62:
	s_or_b64 exec, exec, s[8:9]
	v_and_b32_e32 v28, 0xffff0000, v28
	v_and_b32_e32 v27, 0xffff0000, v29
	v_fmac_f32_e32 v28, v27, v1
	s_mov_b32 s0, 0x7f800000
	v_and_b32_e32 v27, 0x7f800000, v28
	v_cmp_ne_u32_e64 s[0:1], s0, v27
                                        ; implicit-def: $vgpr27
	s_and_saveexec_b64 s[8:9], s[0:1]
	s_xor_b64 s[0:1], exec, s[8:9]
; %bb.63:
	v_bfe_u32 v27, v28, 16, 1
	s_movk_i32 s7, 0x7fff
	v_add3_u32 v27, v28, v27, s7
                                        ; implicit-def: $vgpr28
; %bb.64:
	s_andn2_saveexec_b64 s[8:9], s[0:1]
; %bb.65:
	v_mov_b32_e32 v27, 0
	v_or_b32_e32 v29, 0x10000, v28
	v_cmp_eq_u32_sdwa s[0:1], v28, v27 src0_sel:WORD_0 src1_sel:DWORD
	v_cndmask_b32_e64 v27, v29, v28, s[0:1]
; %bb.66:
	s_or_b64 exec, exec, s[8:9]
	v_lshlrev_b32_e32 v28, 16, v22
	v_mul_f32_e32 v29, v40, v28
	s_mov_b32 s0, 0x7f800000
	v_and_b32_e32 v28, 0x7f800000, v29
	v_cmp_ne_u32_e64 s[0:1], s0, v28
                                        ; implicit-def: $vgpr28
	s_and_saveexec_b64 s[8:9], s[0:1]
	s_xor_b64 s[0:1], exec, s[8:9]
; %bb.67:
	v_bfe_u32 v28, v29, 16, 1
	s_movk_i32 s7, 0x7fff
	v_add3_u32 v28, v29, v28, s7
                                        ; implicit-def: $vgpr29
; %bb.68:
	s_andn2_saveexec_b64 s[8:9], s[0:1]
; %bb.69:
	v_mov_b32_e32 v28, 0
	v_or_b32_e32 v32, 0x10000, v29
	v_cmp_eq_u32_sdwa s[0:1], v29, v28 src0_sel:WORD_0 src1_sel:DWORD
	v_cndmask_b32_e64 v28, v32, v29, s[0:1]
; %bb.70:
	s_or_b64 exec, exec, s[8:9]
	v_and_b32_e32 v22, 0xffff0000, v22
	v_mul_f32_e32 v29, v39, v22
	s_mov_b32 s0, 0x7f800000
	v_and_b32_e32 v22, 0x7f800000, v29
	v_cmp_ne_u32_e64 s[0:1], s0, v22
                                        ; implicit-def: $vgpr22
	s_and_saveexec_b64 s[8:9], s[0:1]
	s_xor_b64 s[0:1], exec, s[8:9]
; %bb.71:
	v_bfe_u32 v22, v29, 16, 1
	s_movk_i32 s7, 0x7fff
	v_add3_u32 v22, v29, v22, s7
                                        ; implicit-def: $vgpr29
; %bb.72:
	s_andn2_saveexec_b64 s[8:9], s[0:1]
; %bb.73:
	v_mov_b32_e32 v22, 0
	v_or_b32_e32 v32, 0x10000, v29
	v_cmp_eq_u32_sdwa s[0:1], v29, v22 src0_sel:WORD_0 src1_sel:DWORD
	v_cndmask_b32_e64 v22, v32, v29, s[0:1]
; %bb.74:
	s_or_b64 exec, exec, s[8:9]
	v_and_b32_e32 v29, 0xffff0000, v28
	v_lshlrev_b32_e32 v28, 16, v23
	v_fmac_f32_e32 v29, v28, v38
	s_mov_b32 s0, 0x7f800000
	v_and_b32_e32 v28, 0x7f800000, v29
	v_cmp_ne_u32_e64 s[0:1], s0, v28
                                        ; implicit-def: $vgpr28
	s_and_saveexec_b64 s[8:9], s[0:1]
	s_xor_b64 s[0:1], exec, s[8:9]
; %bb.75:
	v_bfe_u32 v28, v29, 16, 1
	s_movk_i32 s7, 0x7fff
	v_add3_u32 v28, v29, v28, s7
                                        ; implicit-def: $vgpr29
; %bb.76:
	s_andn2_saveexec_b64 s[8:9], s[0:1]
; %bb.77:
	v_mov_b32_e32 v28, 0
	v_or_b32_e32 v32, 0x10000, v29
	v_cmp_eq_u32_sdwa s[0:1], v29, v28 src0_sel:WORD_0 src1_sel:DWORD
	v_cndmask_b32_e64 v28, v32, v29, s[0:1]
; %bb.78:
	s_or_b64 exec, exec, s[8:9]
	v_and_b32_e32 v29, 0xffff0000, v22
	v_and_b32_e32 v22, 0xffff0000, v23
	v_fmac_f32_e32 v29, v22, v37
	s_mov_b32 s0, 0x7f800000
	v_and_b32_e32 v22, 0x7f800000, v29
	v_cmp_ne_u32_e64 s[0:1], s0, v22
                                        ; implicit-def: $vgpr22
	s_and_saveexec_b64 s[8:9], s[0:1]
	s_xor_b64 s[0:1], exec, s[8:9]
; %bb.79:
	v_bfe_u32 v22, v29, 16, 1
	s_movk_i32 s7, 0x7fff
	v_add3_u32 v22, v29, v22, s7
                                        ; implicit-def: $vgpr29
; %bb.80:
	s_andn2_saveexec_b64 s[8:9], s[0:1]
; %bb.81:
	v_mov_b32_e32 v22, 0
	v_or_b32_e32 v23, 0x10000, v29
	v_cmp_eq_u32_sdwa s[0:1], v29, v22 src0_sel:WORD_0 src1_sel:DWORD
	v_cndmask_b32_e64 v22, v23, v29, s[0:1]
; %bb.82:
	s_or_b64 exec, exec, s[8:9]
	v_and_b32_e32 v28, 0xffff0000, v28
	v_lshlrev_b32_e32 v23, 16, v24
	v_fmac_f32_e32 v28, v23, v36
	s_mov_b32 s0, 0x7f800000
	v_and_b32_e32 v23, 0x7f800000, v28
	v_cmp_ne_u32_e64 s[0:1], s0, v23
                                        ; implicit-def: $vgpr23
	s_and_saveexec_b64 s[8:9], s[0:1]
	s_xor_b64 s[0:1], exec, s[8:9]
; %bb.83:
	v_bfe_u32 v23, v28, 16, 1
	s_movk_i32 s7, 0x7fff
	v_add3_u32 v23, v28, v23, s7
                                        ; implicit-def: $vgpr28
; %bb.84:
	s_andn2_saveexec_b64 s[8:9], s[0:1]
; %bb.85:
	v_mov_b32_e32 v23, 0
	v_or_b32_e32 v29, 0x10000, v28
	v_cmp_eq_u32_sdwa s[0:1], v28, v23 src0_sel:WORD_0 src1_sel:DWORD
	v_cndmask_b32_e64 v23, v29, v28, s[0:1]
; %bb.86:
	s_or_b64 exec, exec, s[8:9]
	v_and_b32_e32 v22, 0xffff0000, v22
	v_and_b32_e32 v24, 0xffff0000, v24
	v_fmac_f32_e32 v22, v24, v35
	s_mov_b32 s0, 0x7f800000
	v_and_b32_e32 v24, 0x7f800000, v22
	v_cmp_ne_u32_e64 s[0:1], s0, v24
                                        ; implicit-def: $vgpr24
	s_and_saveexec_b64 s[8:9], s[0:1]
	s_xor_b64 s[0:1], exec, s[8:9]
; %bb.87:
	v_bfe_u32 v24, v22, 16, 1
	s_movk_i32 s7, 0x7fff
	v_add3_u32 v24, v22, v24, s7
                                        ; implicit-def: $vgpr22
; %bb.88:
	s_andn2_saveexec_b64 s[8:9], s[0:1]
; %bb.89:
	v_mov_b32_e32 v24, 0
	v_or_b32_e32 v28, 0x10000, v22
	v_cmp_eq_u32_sdwa s[0:1], v22, v24 src0_sel:WORD_0 src1_sel:DWORD
	v_cndmask_b32_e64 v24, v28, v22, s[0:1]
; %bb.90:
	s_or_b64 exec, exec, s[8:9]
	v_and_b32_e32 v23, 0xffff0000, v23
	v_lshlrev_b32_e32 v22, 16, v25
	v_fmac_f32_e32 v23, v22, v34
	s_mov_b32 s0, 0x7f800000
	v_and_b32_e32 v22, 0x7f800000, v23
	v_cmp_ne_u32_e64 s[0:1], s0, v22
                                        ; implicit-def: $vgpr22
	s_and_saveexec_b64 s[8:9], s[0:1]
	s_xor_b64 s[0:1], exec, s[8:9]
; %bb.91:
	v_bfe_u32 v22, v23, 16, 1
	s_movk_i32 s7, 0x7fff
	v_add3_u32 v22, v23, v22, s7
                                        ; implicit-def: $vgpr23
; %bb.92:
	s_andn2_saveexec_b64 s[8:9], s[0:1]
; %bb.93:
	v_mov_b32_e32 v22, 0
	v_or_b32_e32 v28, 0x10000, v23
	v_cmp_eq_u32_sdwa s[0:1], v23, v22 src0_sel:WORD_0 src1_sel:DWORD
	v_cndmask_b32_e64 v22, v28, v23, s[0:1]
; %bb.94:
	s_or_b64 exec, exec, s[8:9]
	v_and_b32_e32 v24, 0xffff0000, v24
	v_and_b32_e32 v23, 0xffff0000, v25
	v_fmac_f32_e32 v24, v23, v1
	s_mov_b32 s0, 0x7f800000
	v_and_b32_e32 v23, 0x7f800000, v24
	v_cmp_ne_u32_e64 s[0:1], s0, v23
                                        ; implicit-def: $vgpr23
	s_and_saveexec_b64 s[8:9], s[0:1]
	s_xor_b64 s[0:1], exec, s[8:9]
; %bb.95:
	v_bfe_u32 v23, v24, 16, 1
	s_movk_i32 s7, 0x7fff
	v_add3_u32 v23, v24, v23, s7
                                        ; implicit-def: $vgpr24
; %bb.96:
	s_andn2_saveexec_b64 s[8:9], s[0:1]
; %bb.97:
	v_mov_b32_e32 v23, 0
	v_or_b32_e32 v25, 0x10000, v24
	v_cmp_eq_u32_sdwa s[0:1], v24, v23 src0_sel:WORD_0 src1_sel:DWORD
	v_cndmask_b32_e64 v23, v25, v24, s[0:1]
; %bb.98:
	s_or_b64 exec, exec, s[8:9]
	v_lshlrev_b32_e32 v24, 16, v18
	v_mul_f32_e32 v25, v40, v24
	s_mov_b32 s0, 0x7f800000
	v_and_b32_e32 v24, 0x7f800000, v25
	v_cmp_ne_u32_e64 s[0:1], s0, v24
                                        ; implicit-def: $vgpr24
	s_and_saveexec_b64 s[8:9], s[0:1]
	s_xor_b64 s[0:1], exec, s[8:9]
; %bb.99:
	v_bfe_u32 v24, v25, 16, 1
	s_movk_i32 s7, 0x7fff
	v_add3_u32 v24, v25, v24, s7
                                        ; implicit-def: $vgpr25
; %bb.100:
	s_andn2_saveexec_b64 s[8:9], s[0:1]
; %bb.101:
	v_mov_b32_e32 v24, 0
	v_or_b32_e32 v28, 0x10000, v25
	v_cmp_eq_u32_sdwa s[0:1], v25, v24 src0_sel:WORD_0 src1_sel:DWORD
	v_cndmask_b32_e64 v24, v28, v25, s[0:1]
; %bb.102:
	s_or_b64 exec, exec, s[8:9]
	v_and_b32_e32 v18, 0xffff0000, v18
	v_mul_f32_e32 v25, v39, v18
	s_mov_b32 s0, 0x7f800000
	v_and_b32_e32 v18, 0x7f800000, v25
	v_cmp_ne_u32_e64 s[0:1], s0, v18
                                        ; implicit-def: $vgpr18
	s_and_saveexec_b64 s[8:9], s[0:1]
	s_xor_b64 s[0:1], exec, s[8:9]
; %bb.103:
	v_bfe_u32 v18, v25, 16, 1
	s_movk_i32 s7, 0x7fff
	v_add3_u32 v18, v25, v18, s7
                                        ; implicit-def: $vgpr25
; %bb.104:
	s_andn2_saveexec_b64 s[8:9], s[0:1]
; %bb.105:
	v_mov_b32_e32 v18, 0
	v_or_b32_e32 v28, 0x10000, v25
	v_cmp_eq_u32_sdwa s[0:1], v25, v18 src0_sel:WORD_0 src1_sel:DWORD
	v_cndmask_b32_e64 v18, v28, v25, s[0:1]
; %bb.106:
	s_or_b64 exec, exec, s[8:9]
	v_and_b32_e32 v25, 0xffff0000, v24
	v_lshlrev_b32_e32 v24, 16, v19
	v_fmac_f32_e32 v25, v24, v38
	s_mov_b32 s0, 0x7f800000
	v_and_b32_e32 v24, 0x7f800000, v25
	v_cmp_ne_u32_e64 s[0:1], s0, v24
                                        ; implicit-def: $vgpr24
	s_and_saveexec_b64 s[8:9], s[0:1]
	s_xor_b64 s[0:1], exec, s[8:9]
; %bb.107:
	v_bfe_u32 v24, v25, 16, 1
	s_movk_i32 s7, 0x7fff
	v_add3_u32 v24, v25, v24, s7
                                        ; implicit-def: $vgpr25
; %bb.108:
	s_andn2_saveexec_b64 s[8:9], s[0:1]
; %bb.109:
	v_mov_b32_e32 v24, 0
	v_or_b32_e32 v28, 0x10000, v25
	v_cmp_eq_u32_sdwa s[0:1], v25, v24 src0_sel:WORD_0 src1_sel:DWORD
	v_cndmask_b32_e64 v24, v28, v25, s[0:1]
; %bb.110:
	s_or_b64 exec, exec, s[8:9]
	v_and_b32_e32 v25, 0xffff0000, v18
	v_and_b32_e32 v18, 0xffff0000, v19
	v_fmac_f32_e32 v25, v18, v37
	s_mov_b32 s0, 0x7f800000
	v_and_b32_e32 v18, 0x7f800000, v25
	v_cmp_ne_u32_e64 s[0:1], s0, v18
                                        ; implicit-def: $vgpr18
	s_and_saveexec_b64 s[8:9], s[0:1]
	s_xor_b64 s[0:1], exec, s[8:9]
; %bb.111:
	v_bfe_u32 v18, v25, 16, 1
	s_movk_i32 s7, 0x7fff
	v_add3_u32 v18, v25, v18, s7
                                        ; implicit-def: $vgpr25
; %bb.112:
	s_andn2_saveexec_b64 s[8:9], s[0:1]
; %bb.113:
	v_mov_b32_e32 v18, 0
	v_or_b32_e32 v19, 0x10000, v25
	v_cmp_eq_u32_sdwa s[0:1], v25, v18 src0_sel:WORD_0 src1_sel:DWORD
	v_cndmask_b32_e64 v18, v19, v25, s[0:1]
; %bb.114:
	s_or_b64 exec, exec, s[8:9]
	v_and_b32_e32 v24, 0xffff0000, v24
	v_lshlrev_b32_e32 v19, 16, v20
	v_fmac_f32_e32 v24, v19, v36
	s_mov_b32 s0, 0x7f800000
	v_and_b32_e32 v19, 0x7f800000, v24
	v_cmp_ne_u32_e64 s[0:1], s0, v19
                                        ; implicit-def: $vgpr19
	s_and_saveexec_b64 s[8:9], s[0:1]
	s_xor_b64 s[0:1], exec, s[8:9]
; %bb.115:
	v_bfe_u32 v19, v24, 16, 1
	s_movk_i32 s7, 0x7fff
	v_add3_u32 v19, v24, v19, s7
                                        ; implicit-def: $vgpr24
; %bb.116:
	s_andn2_saveexec_b64 s[8:9], s[0:1]
; %bb.117:
	v_mov_b32_e32 v19, 0
	v_or_b32_e32 v25, 0x10000, v24
	v_cmp_eq_u32_sdwa s[0:1], v24, v19 src0_sel:WORD_0 src1_sel:DWORD
	v_cndmask_b32_e64 v19, v25, v24, s[0:1]
; %bb.118:
	s_or_b64 exec, exec, s[8:9]
	v_and_b32_e32 v18, 0xffff0000, v18
	v_and_b32_e32 v20, 0xffff0000, v20
	v_fmac_f32_e32 v18, v20, v35
	s_mov_b32 s0, 0x7f800000
	v_and_b32_e32 v20, 0x7f800000, v18
	v_cmp_ne_u32_e64 s[0:1], s0, v20
                                        ; implicit-def: $vgpr20
	s_and_saveexec_b64 s[8:9], s[0:1]
	s_xor_b64 s[0:1], exec, s[8:9]
; %bb.119:
	v_bfe_u32 v20, v18, 16, 1
	s_movk_i32 s7, 0x7fff
	v_add3_u32 v20, v18, v20, s7
                                        ; implicit-def: $vgpr18
; %bb.120:
	s_andn2_saveexec_b64 s[8:9], s[0:1]
; %bb.121:
	v_mov_b32_e32 v20, 0
	v_or_b32_e32 v24, 0x10000, v18
	v_cmp_eq_u32_sdwa s[0:1], v18, v20 src0_sel:WORD_0 src1_sel:DWORD
	v_cndmask_b32_e64 v20, v24, v18, s[0:1]
; %bb.122:
	s_or_b64 exec, exec, s[8:9]
	v_and_b32_e32 v19, 0xffff0000, v19
	v_lshlrev_b32_e32 v18, 16, v21
	v_fmac_f32_e32 v19, v18, v34
	s_mov_b32 s0, 0x7f800000
	v_and_b32_e32 v18, 0x7f800000, v19
	v_cmp_ne_u32_e64 s[0:1], s0, v18
                                        ; implicit-def: $vgpr18
	s_and_saveexec_b64 s[8:9], s[0:1]
	s_xor_b64 s[0:1], exec, s[8:9]
; %bb.123:
	v_bfe_u32 v18, v19, 16, 1
	s_movk_i32 s7, 0x7fff
	v_add3_u32 v18, v19, v18, s7
                                        ; implicit-def: $vgpr19
; %bb.124:
	s_andn2_saveexec_b64 s[8:9], s[0:1]
; %bb.125:
	v_mov_b32_e32 v18, 0
	v_or_b32_e32 v24, 0x10000, v19
	v_cmp_eq_u32_sdwa s[0:1], v19, v18 src0_sel:WORD_0 src1_sel:DWORD
	v_cndmask_b32_e64 v18, v24, v19, s[0:1]
; %bb.126:
	s_or_b64 exec, exec, s[8:9]
	v_and_b32_e32 v20, 0xffff0000, v20
	v_and_b32_e32 v19, 0xffff0000, v21
	v_fmac_f32_e32 v20, v19, v1
	s_mov_b32 s0, 0x7f800000
	v_and_b32_e32 v19, 0x7f800000, v20
	v_cmp_ne_u32_e64 s[0:1], s0, v19
                                        ; implicit-def: $vgpr19
	s_and_saveexec_b64 s[8:9], s[0:1]
	s_xor_b64 s[0:1], exec, s[8:9]
; %bb.127:
	v_bfe_u32 v19, v20, 16, 1
	s_movk_i32 s7, 0x7fff
	v_add3_u32 v19, v20, v19, s7
                                        ; implicit-def: $vgpr20
; %bb.128:
	s_andn2_saveexec_b64 s[8:9], s[0:1]
; %bb.129:
	v_mov_b32_e32 v19, 0
	v_or_b32_e32 v21, 0x10000, v20
	v_cmp_eq_u32_sdwa s[0:1], v20, v19 src0_sel:WORD_0 src1_sel:DWORD
	v_cndmask_b32_e64 v19, v21, v20, s[0:1]
; %bb.130:
	s_or_b64 exec, exec, s[8:9]
	v_lshlrev_b32_e32 v20, 16, v14
	v_mul_f32_e32 v21, v40, v20
	s_mov_b32 s0, 0x7f800000
	v_and_b32_e32 v20, 0x7f800000, v21
	v_cmp_ne_u32_e64 s[0:1], s0, v20
                                        ; implicit-def: $vgpr20
	s_and_saveexec_b64 s[8:9], s[0:1]
	s_xor_b64 s[0:1], exec, s[8:9]
; %bb.131:
	v_bfe_u32 v20, v21, 16, 1
	s_movk_i32 s7, 0x7fff
	v_add3_u32 v20, v21, v20, s7
                                        ; implicit-def: $vgpr21
; %bb.132:
	s_andn2_saveexec_b64 s[8:9], s[0:1]
; %bb.133:
	v_mov_b32_e32 v20, 0
	v_or_b32_e32 v24, 0x10000, v21
	v_cmp_eq_u32_sdwa s[0:1], v21, v20 src0_sel:WORD_0 src1_sel:DWORD
	v_cndmask_b32_e64 v20, v24, v21, s[0:1]
; %bb.134:
	s_or_b64 exec, exec, s[8:9]
	v_and_b32_e32 v14, 0xffff0000, v14
	v_mul_f32_e32 v21, v39, v14
	s_mov_b32 s0, 0x7f800000
	v_and_b32_e32 v14, 0x7f800000, v21
	v_cmp_ne_u32_e64 s[0:1], s0, v14
                                        ; implicit-def: $vgpr14
	s_and_saveexec_b64 s[8:9], s[0:1]
	s_xor_b64 s[0:1], exec, s[8:9]
; %bb.135:
	v_bfe_u32 v14, v21, 16, 1
	s_movk_i32 s7, 0x7fff
	v_add3_u32 v14, v21, v14, s7
                                        ; implicit-def: $vgpr21
; %bb.136:
	s_andn2_saveexec_b64 s[8:9], s[0:1]
; %bb.137:
	v_mov_b32_e32 v14, 0
	v_or_b32_e32 v24, 0x10000, v21
	v_cmp_eq_u32_sdwa s[0:1], v21, v14 src0_sel:WORD_0 src1_sel:DWORD
	v_cndmask_b32_e64 v14, v24, v21, s[0:1]
; %bb.138:
	s_or_b64 exec, exec, s[8:9]
	v_and_b32_e32 v21, 0xffff0000, v20
	v_lshlrev_b32_e32 v20, 16, v15
	v_fmac_f32_e32 v21, v20, v38
	s_mov_b32 s0, 0x7f800000
	v_and_b32_e32 v20, 0x7f800000, v21
	v_cmp_ne_u32_e64 s[0:1], s0, v20
                                        ; implicit-def: $vgpr20
	s_and_saveexec_b64 s[8:9], s[0:1]
	s_xor_b64 s[0:1], exec, s[8:9]
; %bb.139:
	v_bfe_u32 v20, v21, 16, 1
	s_movk_i32 s7, 0x7fff
	v_add3_u32 v20, v21, v20, s7
                                        ; implicit-def: $vgpr21
; %bb.140:
	s_andn2_saveexec_b64 s[8:9], s[0:1]
; %bb.141:
	v_mov_b32_e32 v20, 0
	v_or_b32_e32 v24, 0x10000, v21
	v_cmp_eq_u32_sdwa s[0:1], v21, v20 src0_sel:WORD_0 src1_sel:DWORD
	v_cndmask_b32_e64 v20, v24, v21, s[0:1]
; %bb.142:
	s_or_b64 exec, exec, s[8:9]
	v_and_b32_e32 v21, 0xffff0000, v14
	v_and_b32_e32 v14, 0xffff0000, v15
	v_fmac_f32_e32 v21, v14, v37
	s_mov_b32 s0, 0x7f800000
	v_and_b32_e32 v14, 0x7f800000, v21
	v_cmp_ne_u32_e64 s[0:1], s0, v14
                                        ; implicit-def: $vgpr14
	s_and_saveexec_b64 s[8:9], s[0:1]
	s_xor_b64 s[0:1], exec, s[8:9]
; %bb.143:
	v_bfe_u32 v14, v21, 16, 1
	s_movk_i32 s7, 0x7fff
	v_add3_u32 v14, v21, v14, s7
                                        ; implicit-def: $vgpr21
; %bb.144:
	s_andn2_saveexec_b64 s[8:9], s[0:1]
; %bb.145:
	v_mov_b32_e32 v14, 0
	v_or_b32_e32 v15, 0x10000, v21
	v_cmp_eq_u32_sdwa s[0:1], v21, v14 src0_sel:WORD_0 src1_sel:DWORD
	v_cndmask_b32_e64 v14, v15, v21, s[0:1]
; %bb.146:
	s_or_b64 exec, exec, s[8:9]
	v_and_b32_e32 v20, 0xffff0000, v20
	v_lshlrev_b32_e32 v15, 16, v16
	v_fmac_f32_e32 v20, v15, v36
	s_mov_b32 s0, 0x7f800000
	v_and_b32_e32 v15, 0x7f800000, v20
	v_cmp_ne_u32_e64 s[0:1], s0, v15
                                        ; implicit-def: $vgpr15
	s_and_saveexec_b64 s[8:9], s[0:1]
	s_xor_b64 s[0:1], exec, s[8:9]
; %bb.147:
	v_bfe_u32 v15, v20, 16, 1
	s_movk_i32 s7, 0x7fff
	v_add3_u32 v15, v20, v15, s7
                                        ; implicit-def: $vgpr20
; %bb.148:
	s_andn2_saveexec_b64 s[8:9], s[0:1]
; %bb.149:
	v_mov_b32_e32 v15, 0
	v_or_b32_e32 v21, 0x10000, v20
	v_cmp_eq_u32_sdwa s[0:1], v20, v15 src0_sel:WORD_0 src1_sel:DWORD
	v_cndmask_b32_e64 v15, v21, v20, s[0:1]
; %bb.150:
	s_or_b64 exec, exec, s[8:9]
	v_and_b32_e32 v14, 0xffff0000, v14
	v_and_b32_e32 v16, 0xffff0000, v16
	v_fmac_f32_e32 v14, v16, v35
	s_mov_b32 s0, 0x7f800000
	v_and_b32_e32 v16, 0x7f800000, v14
	v_cmp_ne_u32_e64 s[0:1], s0, v16
                                        ; implicit-def: $vgpr16
	s_and_saveexec_b64 s[8:9], s[0:1]
	s_xor_b64 s[0:1], exec, s[8:9]
; %bb.151:
	v_bfe_u32 v16, v14, 16, 1
	s_movk_i32 s7, 0x7fff
	v_add3_u32 v16, v14, v16, s7
                                        ; implicit-def: $vgpr14
; %bb.152:
	s_andn2_saveexec_b64 s[8:9], s[0:1]
; %bb.153:
	v_mov_b32_e32 v16, 0
	v_or_b32_e32 v20, 0x10000, v14
	v_cmp_eq_u32_sdwa s[0:1], v14, v16 src0_sel:WORD_0 src1_sel:DWORD
	v_cndmask_b32_e64 v16, v20, v14, s[0:1]
; %bb.154:
	s_or_b64 exec, exec, s[8:9]
	v_and_b32_e32 v15, 0xffff0000, v15
	v_lshlrev_b32_e32 v14, 16, v17
	v_fmac_f32_e32 v15, v14, v34
	s_mov_b32 s0, 0x7f800000
	v_and_b32_e32 v14, 0x7f800000, v15
	v_cmp_ne_u32_e64 s[0:1], s0, v14
                                        ; implicit-def: $vgpr14
	s_and_saveexec_b64 s[8:9], s[0:1]
	s_xor_b64 s[0:1], exec, s[8:9]
; %bb.155:
	v_bfe_u32 v14, v15, 16, 1
	s_movk_i32 s7, 0x7fff
	v_add3_u32 v14, v15, v14, s7
                                        ; implicit-def: $vgpr15
; %bb.156:
	s_andn2_saveexec_b64 s[8:9], s[0:1]
; %bb.157:
	v_mov_b32_e32 v14, 0
	v_or_b32_e32 v20, 0x10000, v15
	v_cmp_eq_u32_sdwa s[0:1], v15, v14 src0_sel:WORD_0 src1_sel:DWORD
	v_cndmask_b32_e64 v14, v20, v15, s[0:1]
; %bb.158:
	s_or_b64 exec, exec, s[8:9]
	v_and_b32_e32 v16, 0xffff0000, v16
	v_and_b32_e32 v15, 0xffff0000, v17
	v_fmac_f32_e32 v16, v15, v1
	s_mov_b32 s0, 0x7f800000
	v_and_b32_e32 v15, 0x7f800000, v16
	v_cmp_ne_u32_e64 s[0:1], s0, v15
                                        ; implicit-def: $vgpr15
	s_and_saveexec_b64 s[8:9], s[0:1]
	s_xor_b64 s[0:1], exec, s[8:9]
; %bb.159:
	v_bfe_u32 v15, v16, 16, 1
	s_movk_i32 s7, 0x7fff
	v_add3_u32 v15, v16, v15, s7
                                        ; implicit-def: $vgpr16
; %bb.160:
	s_andn2_saveexec_b64 s[8:9], s[0:1]
; %bb.161:
	v_mov_b32_e32 v15, 0
	v_or_b32_e32 v17, 0x10000, v16
	v_cmp_eq_u32_sdwa s[0:1], v16, v15 src0_sel:WORD_0 src1_sel:DWORD
	v_cndmask_b32_e64 v15, v17, v16, s[0:1]
; %bb.162:
	s_or_b64 exec, exec, s[8:9]
	v_lshlrev_b32_e32 v16, 16, v10
	v_mul_f32_e32 v17, v40, v16
	s_mov_b32 s0, 0x7f800000
	v_and_b32_e32 v16, 0x7f800000, v17
	v_cmp_ne_u32_e64 s[0:1], s0, v16
                                        ; implicit-def: $vgpr16
	s_and_saveexec_b64 s[8:9], s[0:1]
	s_xor_b64 s[0:1], exec, s[8:9]
; %bb.163:
	v_bfe_u32 v16, v17, 16, 1
	s_movk_i32 s7, 0x7fff
	v_add3_u32 v16, v17, v16, s7
                                        ; implicit-def: $vgpr17
; %bb.164:
	s_andn2_saveexec_b64 s[8:9], s[0:1]
; %bb.165:
	v_mov_b32_e32 v16, 0
	v_or_b32_e32 v20, 0x10000, v17
	v_cmp_eq_u32_sdwa s[0:1], v17, v16 src0_sel:WORD_0 src1_sel:DWORD
	v_cndmask_b32_e64 v16, v20, v17, s[0:1]
; %bb.166:
	s_or_b64 exec, exec, s[8:9]
	v_and_b32_e32 v10, 0xffff0000, v10
	v_mul_f32_e32 v17, v39, v10
	s_mov_b32 s0, 0x7f800000
	v_and_b32_e32 v10, 0x7f800000, v17
	v_cmp_ne_u32_e64 s[0:1], s0, v10
                                        ; implicit-def: $vgpr10
	s_and_saveexec_b64 s[8:9], s[0:1]
	s_xor_b64 s[0:1], exec, s[8:9]
; %bb.167:
	v_bfe_u32 v10, v17, 16, 1
	s_movk_i32 s7, 0x7fff
	v_add3_u32 v10, v17, v10, s7
                                        ; implicit-def: $vgpr17
; %bb.168:
	s_andn2_saveexec_b64 s[8:9], s[0:1]
; %bb.169:
	v_mov_b32_e32 v10, 0
	v_or_b32_e32 v20, 0x10000, v17
	v_cmp_eq_u32_sdwa s[0:1], v17, v10 src0_sel:WORD_0 src1_sel:DWORD
	v_cndmask_b32_e64 v10, v20, v17, s[0:1]
; %bb.170:
	s_or_b64 exec, exec, s[8:9]
	v_and_b32_e32 v17, 0xffff0000, v16
	v_lshlrev_b32_e32 v16, 16, v11
	v_fmac_f32_e32 v17, v16, v38
	s_mov_b32 s0, 0x7f800000
	v_and_b32_e32 v16, 0x7f800000, v17
	v_cmp_ne_u32_e64 s[0:1], s0, v16
                                        ; implicit-def: $vgpr16
	s_and_saveexec_b64 s[8:9], s[0:1]
	s_xor_b64 s[0:1], exec, s[8:9]
; %bb.171:
	v_bfe_u32 v16, v17, 16, 1
	s_movk_i32 s7, 0x7fff
	v_add3_u32 v16, v17, v16, s7
                                        ; implicit-def: $vgpr17
; %bb.172:
	s_andn2_saveexec_b64 s[8:9], s[0:1]
; %bb.173:
	v_mov_b32_e32 v16, 0
	v_or_b32_e32 v20, 0x10000, v17
	v_cmp_eq_u32_sdwa s[0:1], v17, v16 src0_sel:WORD_0 src1_sel:DWORD
	v_cndmask_b32_e64 v16, v20, v17, s[0:1]
; %bb.174:
	s_or_b64 exec, exec, s[8:9]
	v_and_b32_e32 v17, 0xffff0000, v10
	v_and_b32_e32 v10, 0xffff0000, v11
	v_fmac_f32_e32 v17, v10, v37
	s_mov_b32 s0, 0x7f800000
	v_and_b32_e32 v10, 0x7f800000, v17
	v_cmp_ne_u32_e64 s[0:1], s0, v10
                                        ; implicit-def: $vgpr10
	s_and_saveexec_b64 s[8:9], s[0:1]
	s_xor_b64 s[0:1], exec, s[8:9]
; %bb.175:
	v_bfe_u32 v10, v17, 16, 1
	s_movk_i32 s7, 0x7fff
	v_add3_u32 v10, v17, v10, s7
                                        ; implicit-def: $vgpr17
; %bb.176:
	s_andn2_saveexec_b64 s[8:9], s[0:1]
; %bb.177:
	v_mov_b32_e32 v10, 0
	v_or_b32_e32 v11, 0x10000, v17
	v_cmp_eq_u32_sdwa s[0:1], v17, v10 src0_sel:WORD_0 src1_sel:DWORD
	v_cndmask_b32_e64 v10, v11, v17, s[0:1]
; %bb.178:
	s_or_b64 exec, exec, s[8:9]
	v_and_b32_e32 v16, 0xffff0000, v16
	v_lshlrev_b32_e32 v11, 16, v12
	v_fmac_f32_e32 v16, v11, v36
	s_mov_b32 s0, 0x7f800000
	v_and_b32_e32 v11, 0x7f800000, v16
	v_cmp_ne_u32_e64 s[0:1], s0, v11
                                        ; implicit-def: $vgpr11
	s_and_saveexec_b64 s[8:9], s[0:1]
	s_xor_b64 s[0:1], exec, s[8:9]
; %bb.179:
	v_bfe_u32 v11, v16, 16, 1
	s_movk_i32 s7, 0x7fff
	v_add3_u32 v11, v16, v11, s7
                                        ; implicit-def: $vgpr16
; %bb.180:
	s_andn2_saveexec_b64 s[8:9], s[0:1]
; %bb.181:
	v_mov_b32_e32 v11, 0
	v_or_b32_e32 v17, 0x10000, v16
	v_cmp_eq_u32_sdwa s[0:1], v16, v11 src0_sel:WORD_0 src1_sel:DWORD
	v_cndmask_b32_e64 v11, v17, v16, s[0:1]
; %bb.182:
	s_or_b64 exec, exec, s[8:9]
	v_and_b32_e32 v10, 0xffff0000, v10
	v_and_b32_e32 v12, 0xffff0000, v12
	v_fmac_f32_e32 v10, v12, v35
	s_mov_b32 s0, 0x7f800000
	v_and_b32_e32 v12, 0x7f800000, v10
	v_cmp_ne_u32_e64 s[0:1], s0, v12
                                        ; implicit-def: $vgpr12
	s_and_saveexec_b64 s[8:9], s[0:1]
	s_xor_b64 s[0:1], exec, s[8:9]
; %bb.183:
	v_bfe_u32 v12, v10, 16, 1
	s_movk_i32 s7, 0x7fff
	v_add3_u32 v12, v10, v12, s7
                                        ; implicit-def: $vgpr10
; %bb.184:
	s_andn2_saveexec_b64 s[8:9], s[0:1]
; %bb.185:
	v_mov_b32_e32 v12, 0
	v_or_b32_e32 v16, 0x10000, v10
	v_cmp_eq_u32_sdwa s[0:1], v10, v12 src0_sel:WORD_0 src1_sel:DWORD
	v_cndmask_b32_e64 v12, v16, v10, s[0:1]
; %bb.186:
	s_or_b64 exec, exec, s[8:9]
	v_and_b32_e32 v11, 0xffff0000, v11
	v_lshlrev_b32_e32 v10, 16, v13
	v_fmac_f32_e32 v11, v10, v34
	s_mov_b32 s0, 0x7f800000
	v_and_b32_e32 v10, 0x7f800000, v11
	v_cmp_ne_u32_e64 s[0:1], s0, v10
                                        ; implicit-def: $vgpr10
	s_and_saveexec_b64 s[8:9], s[0:1]
	s_xor_b64 s[0:1], exec, s[8:9]
; %bb.187:
	v_bfe_u32 v10, v11, 16, 1
	s_movk_i32 s7, 0x7fff
	v_add3_u32 v10, v11, v10, s7
                                        ; implicit-def: $vgpr11
; %bb.188:
	s_andn2_saveexec_b64 s[8:9], s[0:1]
; %bb.189:
	v_mov_b32_e32 v10, 0
	v_or_b32_e32 v16, 0x10000, v11
	v_cmp_eq_u32_sdwa s[0:1], v11, v10 src0_sel:WORD_0 src1_sel:DWORD
	v_cndmask_b32_e64 v10, v16, v11, s[0:1]
; %bb.190:
	s_or_b64 exec, exec, s[8:9]
	v_and_b32_e32 v12, 0xffff0000, v12
	v_and_b32_e32 v11, 0xffff0000, v13
	v_fmac_f32_e32 v12, v11, v1
	s_mov_b32 s0, 0x7f800000
	v_and_b32_e32 v11, 0x7f800000, v12
	v_cmp_ne_u32_e64 s[0:1], s0, v11
                                        ; implicit-def: $vgpr11
	s_and_saveexec_b64 s[8:9], s[0:1]
	s_xor_b64 s[0:1], exec, s[8:9]
; %bb.191:
	v_bfe_u32 v11, v12, 16, 1
	s_movk_i32 s7, 0x7fff
	v_add3_u32 v11, v12, v11, s7
                                        ; implicit-def: $vgpr12
; %bb.192:
	s_andn2_saveexec_b64 s[8:9], s[0:1]
; %bb.193:
	v_mov_b32_e32 v11, 0
	v_or_b32_e32 v13, 0x10000, v12
	v_cmp_eq_u32_sdwa s[0:1], v12, v11 src0_sel:WORD_0 src1_sel:DWORD
	v_cndmask_b32_e64 v11, v13, v12, s[0:1]
; %bb.194:
	s_or_b64 exec, exec, s[8:9]
	s_waitcnt vmcnt(1)
	v_lshlrev_b32_e32 v12, 16, v6
	v_mul_f32_e32 v13, v40, v12
	s_mov_b32 s0, 0x7f800000
	v_and_b32_e32 v12, 0x7f800000, v13
	v_cmp_ne_u32_e64 s[0:1], s0, v12
                                        ; implicit-def: $vgpr12
	s_and_saveexec_b64 s[8:9], s[0:1]
	s_xor_b64 s[0:1], exec, s[8:9]
; %bb.195:
	v_bfe_u32 v12, v13, 16, 1
	s_movk_i32 s7, 0x7fff
	v_add3_u32 v12, v13, v12, s7
                                        ; implicit-def: $vgpr13
; %bb.196:
	s_andn2_saveexec_b64 s[8:9], s[0:1]
; %bb.197:
	v_mov_b32_e32 v12, 0
	v_or_b32_e32 v16, 0x10000, v13
	v_cmp_eq_u32_sdwa s[0:1], v13, v12 src0_sel:WORD_0 src1_sel:DWORD
	v_cndmask_b32_e64 v12, v16, v13, s[0:1]
; %bb.198:
	s_or_b64 exec, exec, s[8:9]
	v_and_b32_e32 v6, 0xffff0000, v6
	v_mul_f32_e32 v13, v39, v6
	s_mov_b32 s0, 0x7f800000
	v_and_b32_e32 v6, 0x7f800000, v13
	v_cmp_ne_u32_e64 s[0:1], s0, v6
                                        ; implicit-def: $vgpr6
	s_and_saveexec_b64 s[8:9], s[0:1]
	s_xor_b64 s[0:1], exec, s[8:9]
; %bb.199:
	v_bfe_u32 v6, v13, 16, 1
	s_movk_i32 s7, 0x7fff
	v_add3_u32 v6, v13, v6, s7
                                        ; implicit-def: $vgpr13
; %bb.200:
	s_andn2_saveexec_b64 s[8:9], s[0:1]
; %bb.201:
	v_mov_b32_e32 v6, 0
	v_or_b32_e32 v16, 0x10000, v13
	v_cmp_eq_u32_sdwa s[0:1], v13, v6 src0_sel:WORD_0 src1_sel:DWORD
	v_cndmask_b32_e64 v6, v16, v13, s[0:1]
; %bb.202:
	s_or_b64 exec, exec, s[8:9]
	v_and_b32_e32 v13, 0xffff0000, v12
	v_lshlrev_b32_e32 v12, 16, v7
	v_fmac_f32_e32 v13, v12, v38
	s_mov_b32 s0, 0x7f800000
	v_and_b32_e32 v12, 0x7f800000, v13
	v_cmp_ne_u32_e64 s[0:1], s0, v12
                                        ; implicit-def: $vgpr12
	s_and_saveexec_b64 s[8:9], s[0:1]
	s_xor_b64 s[0:1], exec, s[8:9]
; %bb.203:
	v_bfe_u32 v12, v13, 16, 1
	s_movk_i32 s7, 0x7fff
	v_add3_u32 v12, v13, v12, s7
                                        ; implicit-def: $vgpr13
; %bb.204:
	s_andn2_saveexec_b64 s[8:9], s[0:1]
; %bb.205:
	v_mov_b32_e32 v12, 0
	v_or_b32_e32 v16, 0x10000, v13
	v_cmp_eq_u32_sdwa s[0:1], v13, v12 src0_sel:WORD_0 src1_sel:DWORD
	v_cndmask_b32_e64 v12, v16, v13, s[0:1]
; %bb.206:
	s_or_b64 exec, exec, s[8:9]
	v_and_b32_e32 v13, 0xffff0000, v6
	v_and_b32_e32 v6, 0xffff0000, v7
	v_fmac_f32_e32 v13, v6, v37
	s_mov_b32 s0, 0x7f800000
	v_and_b32_e32 v6, 0x7f800000, v13
	v_cmp_ne_u32_e64 s[0:1], s0, v6
                                        ; implicit-def: $vgpr6
	s_and_saveexec_b64 s[8:9], s[0:1]
	s_xor_b64 s[0:1], exec, s[8:9]
; %bb.207:
	v_bfe_u32 v6, v13, 16, 1
	s_movk_i32 s7, 0x7fff
	v_add3_u32 v6, v13, v6, s7
                                        ; implicit-def: $vgpr13
; %bb.208:
	s_andn2_saveexec_b64 s[8:9], s[0:1]
; %bb.209:
	v_mov_b32_e32 v6, 0
	v_or_b32_e32 v7, 0x10000, v13
	v_cmp_eq_u32_sdwa s[0:1], v13, v6 src0_sel:WORD_0 src1_sel:DWORD
	v_cndmask_b32_e64 v6, v7, v13, s[0:1]
; %bb.210:
	s_or_b64 exec, exec, s[8:9]
	v_and_b32_e32 v12, 0xffff0000, v12
	v_lshlrev_b32_e32 v7, 16, v8
	v_fmac_f32_e32 v12, v7, v36
	s_mov_b32 s0, 0x7f800000
	v_and_b32_e32 v7, 0x7f800000, v12
	v_cmp_ne_u32_e64 s[0:1], s0, v7
                                        ; implicit-def: $vgpr7
	s_and_saveexec_b64 s[8:9], s[0:1]
	s_xor_b64 s[0:1], exec, s[8:9]
; %bb.211:
	v_bfe_u32 v7, v12, 16, 1
	s_movk_i32 s7, 0x7fff
	v_add3_u32 v7, v12, v7, s7
                                        ; implicit-def: $vgpr12
; %bb.212:
	s_andn2_saveexec_b64 s[8:9], s[0:1]
; %bb.213:
	v_mov_b32_e32 v7, 0
	v_or_b32_e32 v13, 0x10000, v12
	v_cmp_eq_u32_sdwa s[0:1], v12, v7 src0_sel:WORD_0 src1_sel:DWORD
	v_cndmask_b32_e64 v7, v13, v12, s[0:1]
; %bb.214:
	s_or_b64 exec, exec, s[8:9]
	v_and_b32_e32 v6, 0xffff0000, v6
	v_and_b32_e32 v8, 0xffff0000, v8
	v_fmac_f32_e32 v6, v8, v35
	s_mov_b32 s0, 0x7f800000
	v_and_b32_e32 v8, 0x7f800000, v6
	v_cmp_ne_u32_e64 s[0:1], s0, v8
                                        ; implicit-def: $vgpr8
	s_and_saveexec_b64 s[8:9], s[0:1]
	s_xor_b64 s[0:1], exec, s[8:9]
; %bb.215:
	v_bfe_u32 v8, v6, 16, 1
	s_movk_i32 s7, 0x7fff
	v_add3_u32 v8, v6, v8, s7
                                        ; implicit-def: $vgpr6
; %bb.216:
	s_andn2_saveexec_b64 s[8:9], s[0:1]
; %bb.217:
	v_mov_b32_e32 v8, 0
	v_or_b32_e32 v12, 0x10000, v6
	v_cmp_eq_u32_sdwa s[0:1], v6, v8 src0_sel:WORD_0 src1_sel:DWORD
	v_cndmask_b32_e64 v8, v12, v6, s[0:1]
; %bb.218:
	s_or_b64 exec, exec, s[8:9]
	v_and_b32_e32 v7, 0xffff0000, v7
	v_lshlrev_b32_e32 v6, 16, v9
	v_fmac_f32_e32 v7, v6, v34
	s_mov_b32 s0, 0x7f800000
	v_and_b32_e32 v6, 0x7f800000, v7
	v_cmp_ne_u32_e64 s[0:1], s0, v6
                                        ; implicit-def: $vgpr6
	s_and_saveexec_b64 s[8:9], s[0:1]
	s_xor_b64 s[0:1], exec, s[8:9]
; %bb.219:
	v_bfe_u32 v6, v7, 16, 1
	s_movk_i32 s7, 0x7fff
	v_add3_u32 v6, v7, v6, s7
                                        ; implicit-def: $vgpr7
; %bb.220:
	s_andn2_saveexec_b64 s[8:9], s[0:1]
; %bb.221:
	v_mov_b32_e32 v6, 0
	v_or_b32_e32 v12, 0x10000, v7
	v_cmp_eq_u32_sdwa s[0:1], v7, v6 src0_sel:WORD_0 src1_sel:DWORD
	v_cndmask_b32_e64 v6, v12, v7, s[0:1]
; %bb.222:
	s_or_b64 exec, exec, s[8:9]
	v_and_b32_e32 v8, 0xffff0000, v8
	v_and_b32_e32 v7, 0xffff0000, v9
	v_fmac_f32_e32 v8, v7, v1
	s_mov_b32 s0, 0x7f800000
	v_and_b32_e32 v7, 0x7f800000, v8
	v_cmp_ne_u32_e64 s[0:1], s0, v7
                                        ; implicit-def: $vgpr7
	s_and_saveexec_b64 s[8:9], s[0:1]
	s_xor_b64 s[0:1], exec, s[8:9]
; %bb.223:
	v_bfe_u32 v7, v8, 16, 1
	s_movk_i32 s7, 0x7fff
	v_add3_u32 v7, v8, v7, s7
                                        ; implicit-def: $vgpr8
; %bb.224:
	s_andn2_saveexec_b64 s[8:9], s[0:1]
; %bb.225:
	v_mov_b32_e32 v7, 0
	v_or_b32_e32 v9, 0x10000, v8
	v_cmp_eq_u32_sdwa s[0:1], v8, v7 src0_sel:WORD_0 src1_sel:DWORD
	v_cndmask_b32_e64 v7, v9, v8, s[0:1]
; %bb.226:
	s_or_b64 exec, exec, s[8:9]
	s_waitcnt vmcnt(0)
	v_lshlrev_b32_e32 v8, 16, v2
	v_mul_f32_e32 v9, v40, v8
	s_mov_b32 s0, 0x7f800000
	v_and_b32_e32 v8, 0x7f800000, v9
	v_cmp_ne_u32_e64 s[0:1], s0, v8
                                        ; implicit-def: $vgpr8
	s_and_saveexec_b64 s[8:9], s[0:1]
	s_xor_b64 s[0:1], exec, s[8:9]
; %bb.227:
	v_bfe_u32 v8, v9, 16, 1
	s_movk_i32 s7, 0x7fff
	v_add3_u32 v8, v9, v8, s7
                                        ; implicit-def: $vgpr9
; %bb.228:
	s_andn2_saveexec_b64 s[8:9], s[0:1]
; %bb.229:
	v_mov_b32_e32 v8, 0
	v_or_b32_e32 v12, 0x10000, v9
	v_cmp_eq_u32_sdwa s[0:1], v9, v8 src0_sel:WORD_0 src1_sel:DWORD
	v_cndmask_b32_e64 v8, v12, v9, s[0:1]
; %bb.230:
	s_or_b64 exec, exec, s[8:9]
	v_and_b32_e32 v2, 0xffff0000, v2
	v_mul_f32_e32 v9, v39, v2
	s_mov_b32 s0, 0x7f800000
	v_and_b32_e32 v2, 0x7f800000, v9
	v_cmp_ne_u32_e64 s[0:1], s0, v2
                                        ; implicit-def: $vgpr2
	s_and_saveexec_b64 s[8:9], s[0:1]
	s_xor_b64 s[0:1], exec, s[8:9]
; %bb.231:
	v_bfe_u32 v2, v9, 16, 1
	s_movk_i32 s7, 0x7fff
	v_add3_u32 v2, v9, v2, s7
                                        ; implicit-def: $vgpr9
; %bb.232:
	s_andn2_saveexec_b64 s[8:9], s[0:1]
; %bb.233:
	v_mov_b32_e32 v2, 0
	v_or_b32_e32 v12, 0x10000, v9
	v_cmp_eq_u32_sdwa s[0:1], v9, v2 src0_sel:WORD_0 src1_sel:DWORD
	v_cndmask_b32_e64 v2, v12, v9, s[0:1]
; %bb.234:
	s_or_b64 exec, exec, s[8:9]
	v_and_b32_e32 v9, 0xffff0000, v8
	v_lshlrev_b32_e32 v8, 16, v3
	v_fmac_f32_e32 v9, v8, v38
	s_mov_b32 s0, 0x7f800000
	v_and_b32_e32 v8, 0x7f800000, v9
	v_cmp_ne_u32_e64 s[0:1], s0, v8
                                        ; implicit-def: $vgpr8
	s_and_saveexec_b64 s[8:9], s[0:1]
	s_xor_b64 s[0:1], exec, s[8:9]
; %bb.235:
	v_bfe_u32 v8, v9, 16, 1
	s_movk_i32 s7, 0x7fff
	v_add3_u32 v8, v9, v8, s7
                                        ; implicit-def: $vgpr9
; %bb.236:
	s_andn2_saveexec_b64 s[8:9], s[0:1]
; %bb.237:
	v_mov_b32_e32 v8, 0
	v_or_b32_e32 v12, 0x10000, v9
	v_cmp_eq_u32_sdwa s[0:1], v9, v8 src0_sel:WORD_0 src1_sel:DWORD
	v_cndmask_b32_e64 v8, v12, v9, s[0:1]
; %bb.238:
	s_or_b64 exec, exec, s[8:9]
	v_and_b32_e32 v9, 0xffff0000, v2
	v_and_b32_e32 v2, 0xffff0000, v3
	v_fmac_f32_e32 v9, v2, v37
	s_mov_b32 s0, 0x7f800000
	v_and_b32_e32 v2, 0x7f800000, v9
	v_cmp_ne_u32_e64 s[0:1], s0, v2
                                        ; implicit-def: $vgpr2
	s_and_saveexec_b64 s[8:9], s[0:1]
	s_xor_b64 s[0:1], exec, s[8:9]
; %bb.239:
	v_bfe_u32 v2, v9, 16, 1
	s_movk_i32 s7, 0x7fff
	v_add3_u32 v2, v9, v2, s7
                                        ; implicit-def: $vgpr9
; %bb.240:
	s_andn2_saveexec_b64 s[8:9], s[0:1]
; %bb.241:
	v_mov_b32_e32 v2, 0
	v_or_b32_e32 v3, 0x10000, v9
	v_cmp_eq_u32_sdwa s[0:1], v9, v2 src0_sel:WORD_0 src1_sel:DWORD
	v_cndmask_b32_e64 v2, v3, v9, s[0:1]
; %bb.242:
	s_or_b64 exec, exec, s[8:9]
	v_and_b32_e32 v8, 0xffff0000, v8
	v_lshlrev_b32_e32 v3, 16, v4
	v_fmac_f32_e32 v8, v3, v36
	s_mov_b32 s0, 0x7f800000
	v_and_b32_e32 v3, 0x7f800000, v8
	v_cmp_ne_u32_e64 s[0:1], s0, v3
                                        ; implicit-def: $vgpr3
	s_and_saveexec_b64 s[8:9], s[0:1]
	s_xor_b64 s[0:1], exec, s[8:9]
; %bb.243:
	v_bfe_u32 v3, v8, 16, 1
	s_movk_i32 s7, 0x7fff
	v_add3_u32 v3, v8, v3, s7
                                        ; implicit-def: $vgpr8
; %bb.244:
	s_andn2_saveexec_b64 s[8:9], s[0:1]
; %bb.245:
	v_mov_b32_e32 v3, 0
	v_or_b32_e32 v9, 0x10000, v8
	v_cmp_eq_u32_sdwa s[0:1], v8, v3 src0_sel:WORD_0 src1_sel:DWORD
	v_cndmask_b32_e64 v3, v9, v8, s[0:1]
; %bb.246:
	s_or_b64 exec, exec, s[8:9]
	v_and_b32_e32 v8, 0xffff0000, v2
	v_and_b32_e32 v2, 0xffff0000, v4
	v_fmac_f32_e32 v8, v2, v35
	s_mov_b32 s0, 0x7f800000
	v_and_b32_e32 v2, 0x7f800000, v8
	v_cmp_ne_u32_e64 s[0:1], s0, v2
                                        ; implicit-def: $vgpr2
	s_and_saveexec_b64 s[8:9], s[0:1]
	s_xor_b64 s[0:1], exec, s[8:9]
; %bb.247:
	v_bfe_u32 v2, v8, 16, 1
	s_movk_i32 s7, 0x7fff
	v_add3_u32 v2, v8, v2, s7
                                        ; implicit-def: $vgpr8
; %bb.248:
	s_andn2_saveexec_b64 s[8:9], s[0:1]
; %bb.249:
	v_mov_b32_e32 v2, 0
	v_or_b32_e32 v4, 0x10000, v8
	v_cmp_eq_u32_sdwa s[0:1], v8, v2 src0_sel:WORD_0 src1_sel:DWORD
	v_cndmask_b32_e64 v2, v4, v8, s[0:1]
; %bb.250:
	s_or_b64 exec, exec, s[8:9]
	v_and_b32_e32 v4, 0xffff0000, v3
	v_lshlrev_b32_e32 v3, 16, v5
	v_fmac_f32_e32 v4, v3, v34
	s_mov_b32 s0, 0x7f800000
	v_and_b32_e32 v3, 0x7f800000, v4
	v_cmp_ne_u32_e64 s[0:1], s0, v3
                                        ; implicit-def: $vgpr3
	s_and_saveexec_b64 s[8:9], s[0:1]
	s_xor_b64 s[0:1], exec, s[8:9]
; %bb.251:
	v_bfe_u32 v3, v4, 16, 1
	s_movk_i32 s7, 0x7fff
	v_add3_u32 v3, v4, v3, s7
                                        ; implicit-def: $vgpr4
; %bb.252:
	s_andn2_saveexec_b64 s[8:9], s[0:1]
; %bb.253:
	v_mov_b32_e32 v3, 0
	v_or_b32_e32 v8, 0x10000, v4
	v_cmp_eq_u32_sdwa s[0:1], v4, v3 src0_sel:WORD_0 src1_sel:DWORD
	v_cndmask_b32_e64 v3, v8, v4, s[0:1]
; %bb.254:
	s_or_b64 exec, exec, s[8:9]
	v_and_b32_e32 v2, 0xffff0000, v2
	v_and_b32_e32 v4, 0xffff0000, v5
	v_fmac_f32_e32 v2, v4, v1
	s_mov_b32 s0, 0x7f800000
	v_and_b32_e32 v1, 0x7f800000, v2
	v_cmp_ne_u32_e64 s[0:1], s0, v1
                                        ; implicit-def: $vgpr1
	s_and_saveexec_b64 s[8:9], s[0:1]
	s_xor_b64 s[0:1], exec, s[8:9]
; %bb.255:
	v_bfe_u32 v1, v2, 16, 1
	s_movk_i32 s7, 0x7fff
	v_add3_u32 v1, v2, v1, s7
                                        ; implicit-def: $vgpr2
; %bb.256:
	s_andn2_saveexec_b64 s[8:9], s[0:1]
; %bb.257:
	v_mov_b32_e32 v1, 0
	v_or_b32_e32 v4, 0x10000, v2
	v_cmp_eq_u32_sdwa s[0:1], v2, v1 src0_sel:WORD_0 src1_sel:DWORD
	v_cndmask_b32_e64 v1, v4, v2, s[0:1]
; %bb.258:
	s_or_b64 exec, exec, s[8:9]
	v_and_b32_e32 v2, 0xffff0000, v6
	v_and_b32_e32 v4, 0xffff0000, v7
	v_add_f32_e32 v2, v2, v4
	v_and_b32_e32 v4, 0xffff0000, v10
	v_and_b32_e32 v5, 0xffff0000, v11
	v_add_f32_e32 v4, v4, v5
	v_cndmask_b32_e32 v5, 0, v4, vcc
	v_and_b32_e32 v4, 0xffff0000, v14
	v_and_b32_e32 v6, 0xffff0000, v15
	v_add_f32_e32 v4, v4, v6
	v_and_b32_e32 v6, 0xffff0000, v18
	v_and_b32_e32 v7, 0xffff0000, v19
	v_add_f32_e32 v6, v6, v7
	v_cndmask_b32_e32 v7, 0, v6, vcc
	v_and_b32_e32 v6, 0xffff0000, v22
	v_and_b32_e32 v8, 0xffff0000, v23
	v_add_f32_e32 v6, v6, v8
	v_and_b32_e32 v8, 0xffff0000, v26
	v_and_b32_e32 v9, 0xffff0000, v27
	v_add_f32_e32 v8, v8, v9
	v_and_b32_e32 v11, 0xffff0000, v1
	v_mbcnt_lo_u32_b32 v1, -1, 0
	v_cndmask_b32_e32 v9, 0, v8, vcc
	v_and_b32_e32 v8, 0xffff0000, v30
	v_and_b32_e32 v10, 0xffff0000, v31
	v_mbcnt_hi_u32_b32 v21, -1, v1
	v_add_f32_e32 v8, v8, v10
	v_and_b32_e32 v10, 0xffff0000, v3
	v_mov_b32_e32 v12, v11
	v_and_b32_e32 v1, 64, v21
	v_pk_add_f32 v[10:11], v[12:13], v[10:11] op_sel_hi:[0,1]
	v_add_u32_e32 v26, 64, v1
	v_xor_b32_e32 v1, 32, v21
	v_cndmask_b32_e32 v2, 0, v2, vcc
	v_cndmask_b32_e32 v4, 0, v4, vcc
	;; [unrolled: 1-line block ×5, first 2 shown]
	v_cmp_lt_i32_e32 vcc, v1, v26
	v_cndmask_b32_e32 v1, v21, v1, vcc
	v_lshlrev_b32_e32 v1, 2, v1
	ds_bpermute_b32 v12, v1, v6
	ds_bpermute_b32 v13, v1, v7
	;; [unrolled: 1-line block ×8, first 2 shown]
	v_xor_b32_e32 v1, 16, v21
	v_cmp_lt_i32_e32 vcc, v1, v26
	v_cndmask_b32_e32 v1, v21, v1, vcc
	v_lshlrev_b32_e32 v1, 2, v1
	s_waitcnt lgkmcnt(6)
	v_pk_add_f32 v[6:7], v[6:7], v[12:13]
	ds_bpermute_b32 v12, v1, v6
	ds_bpermute_b32 v13, v1, v7
	v_xor_b32_e32 v18, 8, v21
	v_cmp_lt_i32_e32 vcc, v18, v26
	v_cndmask_b32_e32 v18, v21, v18, vcc
	v_lshlrev_b32_e32 v18, 2, v18
	s_waitcnt lgkmcnt(0)
	v_pk_add_f32 v[6:7], v[6:7], v[12:13]
	ds_bpermute_b32 v12, v18, v6
	ds_bpermute_b32 v13, v18, v7
	v_pk_add_f32 v[8:9], v[8:9], v[10:11]
	v_xor_b32_e32 v19, 4, v21
	ds_bpermute_b32 v10, v1, v8
	ds_bpermute_b32 v11, v1, v9
	v_cmp_lt_i32_e32 vcc, v19, v26
	v_cndmask_b32_e32 v19, v21, v19, vcc
	v_pk_add_f32 v[4:5], v[4:5], v[14:15]
	v_pk_add_f32 v[2:3], v[2:3], v[16:17]
	v_lshlrev_b32_e32 v19, 2, v19
	s_waitcnt lgkmcnt(2)
	v_pk_add_f32 v[6:7], v[6:7], v[12:13]
	ds_bpermute_b32 v14, v1, v4
	ds_bpermute_b32 v15, v1, v5
	;; [unrolled: 1-line block ×6, first 2 shown]
	s_waitcnt lgkmcnt(6)
	v_pk_add_f32 v[8:9], v[8:9], v[10:11]
	ds_bpermute_b32 v10, v18, v8
	ds_bpermute_b32 v11, v18, v9
	s_waitcnt lgkmcnt(6)
	v_pk_add_f32 v[4:5], v[4:5], v[14:15]
	s_waitcnt lgkmcnt(4)
	v_pk_add_f32 v[2:3], v[2:3], v[16:17]
	;; [unrolled: 2-line block ×3, first 2 shown]
	ds_bpermute_b32 v12, v18, v4
	ds_bpermute_b32 v13, v18, v5
	;; [unrolled: 1-line block ×4, first 2 shown]
	s_waitcnt lgkmcnt(4)
	v_pk_add_f32 v[8:9], v[8:9], v[10:11]
	ds_bpermute_b32 v10, v19, v8
	ds_bpermute_b32 v11, v19, v9
	v_xor_b32_e32 v20, 2, v21
	s_waitcnt lgkmcnt(4)
	v_pk_add_f32 v[4:5], v[4:5], v[12:13]
	s_waitcnt lgkmcnt(2)
	v_pk_add_f32 v[2:3], v[2:3], v[14:15]
	v_cmp_lt_i32_e32 vcc, v20, v26
	ds_bpermute_b32 v12, v19, v4
	ds_bpermute_b32 v13, v19, v5
	;; [unrolled: 1-line block ×4, first 2 shown]
	v_cndmask_b32_e32 v20, v21, v20, vcc
	v_lshlrev_b32_e32 v20, 2, v20
	s_waitcnt lgkmcnt(4)
	v_pk_add_f32 v[8:9], v[8:9], v[10:11]
	ds_bpermute_b32 v10, v20, v8
	ds_bpermute_b32 v11, v20, v9
	s_waitcnt lgkmcnt(4)
	v_pk_add_f32 v[12:13], v[4:5], v[12:13]
	s_waitcnt lgkmcnt(2)
	v_pk_add_f32 v[14:15], v[2:3], v[14:15]
	ds_bpermute_b32 v16, v20, v6
	ds_bpermute_b32 v17, v20, v7
	;; [unrolled: 1-line block ×6, first 2 shown]
	s_waitcnt lgkmcnt(6)
	v_pk_add_f32 v[8:9], v[8:9], v[10:11]
	v_xor_b32_e32 v10, 1, v21
	v_cmp_lt_i32_e32 vcc, v10, v26
	v_cndmask_b32_e32 v10, v21, v10, vcc
	s_waitcnt lgkmcnt(4)
	v_pk_add_f32 v[4:5], v[6:7], v[16:17]
	s_waitcnt lgkmcnt(2)
	v_pk_add_f32 v[2:3], v[12:13], v[22:23]
	;; [unrolled: 2-line block ×3, first 2 shown]
	v_lshlrev_b32_e32 v21, 2, v10
	ds_bpermute_b32 v16, v21, v8
	ds_bpermute_b32 v17, v21, v9
	;; [unrolled: 1-line block ×8, first 2 shown]
	v_and_b32_e32 v22, 63, v0
	v_cmp_gt_u32_e32 vcc, 8, v22
	s_and_saveexec_b64 s[0:1], vcc
	s_cbranch_execz .LBB6_260
; %bb.259:
	s_waitcnt lgkmcnt(6)
	v_pk_add_f32 v[8:9], v[8:9], v[16:17]
	v_cmp_eq_u32_e32 vcc, 1, v22
	s_waitcnt lgkmcnt(4)
	v_pk_add_f32 v[4:5], v[4:5], v[12:13]
	v_cndmask_b32_e32 v8, v8, v9, vcc
	v_cmp_eq_u32_e32 vcc, 2, v22
	v_cndmask_b32_e32 v4, v8, v4, vcc
	v_cmp_eq_u32_e32 vcc, 3, v22
	s_waitcnt lgkmcnt(2)
	v_pk_add_f32 v[2:3], v[2:3], v[10:11]
	v_cndmask_b32_e32 v4, v4, v5, vcc
	v_cmp_eq_u32_e32 vcc, 4, v22
	v_cndmask_b32_e32 v2, v4, v2, vcc
	v_cmp_eq_u32_e32 vcc, 5, v22
	s_waitcnt lgkmcnt(0)
	v_pk_add_f32 v[6:7], v[6:7], v[14:15]
	v_lshrrev_b32_e32 v10, 4, v0
	v_cndmask_b32_e32 v2, v2, v3, vcc
	v_cmp_eq_u32_e32 vcc, 6, v22
	v_and_b32_e32 v10, 60, v10
	v_cndmask_b32_e32 v2, v2, v6, vcc
	v_cmp_eq_u32_e32 vcc, 7, v22
	v_lshl_or_b32 v10, v22, 8, v10
	v_cndmask_b32_e32 v2, v2, v7, vcc
	ds_write_b32 v10, v2
.LBB6_260:
	s_or_b64 exec, exec, s[0:1]
	s_movk_i32 s0, 0x80
	v_cmp_gt_u32_e32 vcc, s0, v0
	s_waitcnt lgkmcnt(0)
	s_barrier
	s_and_saveexec_b64 s[0:1], vcc
	s_cbranch_execz .LBB6_273
; %bb.261:
	s_load_dword s0, s[4:5], 0x2c
	v_and_b32_e32 v3, 15, v0
	v_mov_b32_e32 v2, 0
	s_waitcnt lgkmcnt(0)
	s_and_b32 s0, 0xffff, s0
	s_lshr_b32 s0, s0, 6
	v_cmp_gt_u32_e32 vcc, s0, v3
	s_and_saveexec_b64 s[0:1], vcc
	s_cbranch_execz .LBB6_263
; %bb.262:
	v_lshlrev_b32_e32 v2, 2, v3
	v_lshlrev_b32_e32 v3, 4, v0
	s_movk_i32 s4, 0x3f00
	v_and_or_b32 v2, v3, s4, v2
	ds_read_b32 v2, v2
.LBB6_263:
	s_or_b64 exec, exec, s[0:1]
	s_waitcnt lgkmcnt(0)
	ds_bpermute_b32 v3, v18, v2
	s_waitcnt lgkmcnt(0)
	v_add_f32_e32 v2, v2, v3
	ds_bpermute_b32 v3, v19, v2
	s_waitcnt lgkmcnt(0)
	v_add_f32_e32 v2, v2, v3
	;; [unrolled: 3-line block ×4, first 2 shown]
	ds_bpermute_b32 v2, v1, v3
	v_and_b32_e32 v1, 31, v0
	v_cmp_eq_u32_e32 vcc, 0, v1
	s_and_b64 exec, exec, vcc
	s_cbranch_execz .LBB6_273
; %bb.264:
	s_mov_b32 s0, 0x7f800000
	v_and_b32_e32 v1, 0x7f800000, v3
	v_cmp_ne_u32_e32 vcc, s0, v1
                                        ; implicit-def: $vgpr1
	s_and_saveexec_b64 s[0:1], vcc
	s_xor_b64 s[0:1], exec, s[0:1]
; %bb.265:
	v_bfe_u32 v1, v3, 16, 1
	s_movk_i32 s4, 0x7fff
	v_add3_u32 v1, v3, v1, s4
                                        ; implicit-def: $vgpr3
; %bb.266:
	s_andn2_saveexec_b64 s[0:1], s[0:1]
; %bb.267:
	v_mov_b32_e32 v1, 0
	v_or_b32_e32 v4, 0x10000, v3
	v_cmp_eq_u32_sdwa vcc, v3, v1 src0_sel:WORD_0 src1_sel:DWORD
	v_cndmask_b32_e32 v1, v4, v3, vcc
; %bb.268:
	s_or_b64 exec, exec, s[0:1]
	s_mov_b32 s0, 0x7f800000
	s_waitcnt lgkmcnt(0)
	v_and_b32_e32 v3, 0x7f800000, v2
	v_cmp_ne_u32_e32 vcc, s0, v3
                                        ; implicit-def: $vgpr3
	s_and_saveexec_b64 s[0:1], vcc
	s_xor_b64 s[0:1], exec, s[0:1]
; %bb.269:
	v_bfe_u32 v3, v2, 16, 1
	s_movk_i32 s4, 0x7fff
	v_add3_u32 v3, v2, v3, s4
                                        ; implicit-def: $vgpr2
; %bb.270:
	s_andn2_saveexec_b64 s[0:1], s[0:1]
; %bb.271:
	v_mov_b32_e32 v3, 0
	v_or_b32_e32 v4, 0x10000, v2
	v_cmp_eq_u32_sdwa vcc, v2, v3 src0_sel:WORD_0 src1_sel:DWORD
	v_cndmask_b32_e32 v3, v4, v2, vcc
; %bb.272:
	s_or_b64 exec, exec, s[0:1]
	s_lshl_b32 s0, s6, 2
	s_and_b32 s0, s0, 0x7ffffffc
	v_lshrrev_b32_e32 v0, 5, v0
	v_or_b32_e32 v4, s0, v0
	v_mov_b32_e32 v5, 0
	v_lshlrev_b64 v[4:5], 2, v[4:5]
	v_mov_b32_e32 v0, s3
	v_add_co_u32_e32 v4, vcc, s2, v4
	s_mov_b32 s0, 0x7060302
	v_addc_co_u32_e32 v5, vcc, v0, v5, vcc
	v_perm_b32 v0, v3, v1, s0
	global_store_dword v[4:5], v0, off
.LBB6_273:
	s_endpgm
	.section	.rodata,"a",@progbits
	.p2align	6, 0x0
	.amdhsa_kernel _Z14LLGemm1_kernelIN3c108BFloat16ELi8EEvPKT_S4_PS2_i
		.amdhsa_group_segment_fixed_size 2048
		.amdhsa_private_segment_fixed_size 0
		.amdhsa_kernarg_size 288
		.amdhsa_user_sgpr_count 6
		.amdhsa_user_sgpr_private_segment_buffer 1
		.amdhsa_user_sgpr_dispatch_ptr 0
		.amdhsa_user_sgpr_queue_ptr 0
		.amdhsa_user_sgpr_kernarg_segment_ptr 1
		.amdhsa_user_sgpr_dispatch_id 0
		.amdhsa_user_sgpr_flat_scratch_init 0
		.amdhsa_user_sgpr_kernarg_preload_length 0
		.amdhsa_user_sgpr_kernarg_preload_offset 0
		.amdhsa_user_sgpr_private_segment_size 0
		.amdhsa_uses_dynamic_stack 0
		.amdhsa_system_sgpr_private_segment_wavefront_offset 0
		.amdhsa_system_sgpr_workgroup_id_x 1
		.amdhsa_system_sgpr_workgroup_id_y 0
		.amdhsa_system_sgpr_workgroup_id_z 0
		.amdhsa_system_sgpr_workgroup_info 0
		.amdhsa_system_vgpr_workitem_id 0
		.amdhsa_next_free_vgpr 44
		.amdhsa_next_free_sgpr 16
		.amdhsa_accum_offset 44
		.amdhsa_reserve_vcc 1
		.amdhsa_reserve_flat_scratch 0
		.amdhsa_float_round_mode_32 0
		.amdhsa_float_round_mode_16_64 0
		.amdhsa_float_denorm_mode_32 3
		.amdhsa_float_denorm_mode_16_64 3
		.amdhsa_dx10_clamp 1
		.amdhsa_ieee_mode 1
		.amdhsa_fp16_overflow 0
		.amdhsa_tg_split 0
		.amdhsa_exception_fp_ieee_invalid_op 0
		.amdhsa_exception_fp_denorm_src 0
		.amdhsa_exception_fp_ieee_div_zero 0
		.amdhsa_exception_fp_ieee_overflow 0
		.amdhsa_exception_fp_ieee_underflow 0
		.amdhsa_exception_fp_ieee_inexact 0
		.amdhsa_exception_int_div_zero 0
	.end_amdhsa_kernel
	.section	.text._Z14LLGemm1_kernelIN3c108BFloat16ELi8EEvPKT_S4_PS2_i,"axG",@progbits,_Z14LLGemm1_kernelIN3c108BFloat16ELi8EEvPKT_S4_PS2_i,comdat
.Lfunc_end6:
	.size	_Z14LLGemm1_kernelIN3c108BFloat16ELi8EEvPKT_S4_PS2_i, .Lfunc_end6-_Z14LLGemm1_kernelIN3c108BFloat16ELi8EEvPKT_S4_PS2_i
                                        ; -- End function
	.section	.AMDGPU.csdata,"",@progbits
; Kernel info:
; codeLenInByte = 8640
; NumSgprs: 20
; NumVgprs: 44
; NumAgprs: 0
; TotalNumVgprs: 44
; ScratchSize: 0
; MemoryBound: 0
; FloatMode: 240
; IeeeMode: 1
; LDSByteSize: 2048 bytes/workgroup (compile time only)
; SGPRBlocks: 2
; VGPRBlocks: 5
; NumSGPRsForWavesPerEU: 20
; NumVGPRsForWavesPerEU: 44
; AccumOffset: 44
; Occupancy: 8
; WaveLimiterHint : 0
; COMPUTE_PGM_RSRC2:SCRATCH_EN: 0
; COMPUTE_PGM_RSRC2:USER_SGPR: 6
; COMPUTE_PGM_RSRC2:TRAP_HANDLER: 0
; COMPUTE_PGM_RSRC2:TGID_X_EN: 1
; COMPUTE_PGM_RSRC2:TGID_Y_EN: 0
; COMPUTE_PGM_RSRC2:TGID_Z_EN: 0
; COMPUTE_PGM_RSRC2:TIDIG_COMP_CNT: 0
; COMPUTE_PGM_RSRC3_GFX90A:ACCUM_OFFSET: 10
; COMPUTE_PGM_RSRC3_GFX90A:TG_SPLIT: 0
	.section	.text._Z14LLGemm1_kernelIN3c108BFloat16ELi16EEvPKT_S4_PS2_i,"axG",@progbits,_Z14LLGemm1_kernelIN3c108BFloat16ELi16EEvPKT_S4_PS2_i,comdat
	.protected	_Z14LLGemm1_kernelIN3c108BFloat16ELi16EEvPKT_S4_PS2_i ; -- Begin function _Z14LLGemm1_kernelIN3c108BFloat16ELi16EEvPKT_S4_PS2_i
	.globl	_Z14LLGemm1_kernelIN3c108BFloat16ELi16EEvPKT_S4_PS2_i
	.p2align	8
	.type	_Z14LLGemm1_kernelIN3c108BFloat16ELi16EEvPKT_S4_PS2_i,@function
_Z14LLGemm1_kernelIN3c108BFloat16ELi16EEvPKT_S4_PS2_i: ; @_Z14LLGemm1_kernelIN3c108BFloat16ELi16EEvPKT_S4_PS2_i
; %bb.0:
	s_load_dword s7, s[4:5], 0x18
	s_load_dwordx4 s[8:11], s[4:5], 0x0
	s_load_dwordx2 s[2:3], s[4:5], 0x10
	v_lshlrev_b32_e32 v1, 3, v0
	s_mov_b32 s15, 0
	s_waitcnt lgkmcnt(0)
	v_cmp_gt_i32_e32 vcc, s7, v1
	v_mov_b32_e32 v1, 0
	v_mov_b32_e32 v66, 0
	;; [unrolled: 1-line block ×8, first 2 shown]
                                        ; implicit-def: $vgpr2
                                        ; implicit-def: $vgpr6
                                        ; implicit-def: $vgpr10
                                        ; implicit-def: $vgpr14
                                        ; implicit-def: $vgpr18
                                        ; implicit-def: $vgpr22
                                        ; implicit-def: $vgpr26
                                        ; implicit-def: $vgpr30
                                        ; implicit-def: $vgpr34
                                        ; implicit-def: $vgpr38
                                        ; implicit-def: $vgpr42
                                        ; implicit-def: $vgpr46
                                        ; implicit-def: $vgpr50
                                        ; implicit-def: $vgpr54
                                        ; implicit-def: $vgpr58
                                        ; implicit-def: $vgpr62
	s_and_saveexec_b64 s[12:13], vcc
	s_cbranch_execz .LBB7_2
; %bb.1:
	s_mul_i32 s0, s6, s7
	s_lshl_b32 s0, s0, 1
	s_and_b32 s0, s0, 0x1ffffffe
	v_add_u32_e32 v2, s0, v0
	v_mov_b32_e32 v3, 0
	v_lshlrev_b64 v[4:5], 4, v[2:3]
	v_mov_b32_e32 v1, s9
	v_add_co_u32_e64 v4, s[0:1], s8, v4
	s_lshr_b32 s14, s7, 3
	v_addc_co_u32_e64 v5, s[0:1], v1, v5, s[0:1]
	s_lshl_b64 s[0:1], s[14:15], 4
	v_mov_b32_e32 v1, s1
	v_add_co_u32_e64 v6, s[0:1], s0, v4
	v_addc_co_u32_e64 v7, s[0:1], v5, v1, s[0:1]
	s_add_i32 s0, s14, s14
	global_load_dwordx4 v[62:65], v[4:5], off glc slc
	global_load_dwordx4 v[58:61], v[6:7], off glc slc
	v_add_u32_e32 v4, s0, v2
	v_mov_b32_e32 v5, v3
	v_lshlrev_b64 v[6:7], 4, v[4:5]
	v_mov_b32_e32 v1, s9
	v_add_co_u32_e64 v6, s[0:1], s8, v6
	v_add_u32_e32 v4, s14, v4
	v_addc_co_u32_e64 v7, s[0:1], v1, v7, s[0:1]
	v_lshlrev_b64 v[8:9], 4, v[4:5]
	v_add_co_u32_e64 v8, s[0:1], s8, v8
	v_add_u32_e32 v4, s14, v4
	v_addc_co_u32_e64 v9, s[0:1], v1, v9, s[0:1]
	global_load_dwordx4 v[54:57], v[6:7], off glc slc
	global_load_dwordx4 v[50:53], v[8:9], off glc slc
	v_lshlrev_b64 v[6:7], 4, v[4:5]
	v_add_co_u32_e64 v6, s[0:1], s8, v6
	v_add_u32_e32 v4, s14, v4
	v_addc_co_u32_e64 v7, s[0:1], v1, v7, s[0:1]
	v_lshlrev_b64 v[8:9], 4, v[4:5]
	v_lshlrev_b32_e32 v5, 4, v0
	global_load_dwordx4 v[72:75], v5, s[10:11]
	v_add_co_u32_e64 v8, s[0:1], s8, v8
	v_add_u32_e32 v4, s14, v4
	v_mov_b32_e32 v5, v3
	v_addc_co_u32_e64 v9, s[0:1], v1, v9, s[0:1]
	global_load_dwordx4 v[46:49], v[6:7], off glc slc
	global_load_dwordx4 v[42:45], v[8:9], off glc slc
	v_lshlrev_b64 v[6:7], 4, v[4:5]
	v_add_co_u32_e64 v6, s[0:1], s8, v6
	v_add_u32_e32 v4, s14, v4
	v_addc_co_u32_e64 v7, s[0:1], v1, v7, s[0:1]
	v_lshlrev_b64 v[8:9], 4, v[4:5]
	v_add_co_u32_e64 v8, s[0:1], s8, v8
	v_addc_co_u32_e64 v9, s[0:1], v1, v9, s[0:1]
	s_and_b32 s0, s7, -8
	v_add_u32_e32 v2, s0, v2
	global_load_dwordx4 v[38:41], v[6:7], off glc slc
	global_load_dwordx4 v[34:37], v[8:9], off glc slc
	v_lshlrev_b64 v[6:7], 4, v[2:3]
	v_add_co_u32_e64 v6, s[0:1], s8, v6
	v_lshl_add_u32 v2, s14, 1, v4
	v_addc_co_u32_e64 v7, s[0:1], v1, v7, s[0:1]
	v_lshlrev_b64 v[4:5], 4, v[2:3]
	v_add_co_u32_e64 v4, s[0:1], s8, v4
	v_add_u32_e32 v2, s14, v2
	v_addc_co_u32_e64 v5, s[0:1], v1, v5, s[0:1]
	v_lshlrev_b64 v[8:9], 4, v[2:3]
	v_add_co_u32_e64 v8, s[0:1], s8, v8
	v_add_u32_e32 v2, s14, v2
	;; [unrolled: 4-line block ×6, first 2 shown]
	v_addc_co_u32_e64 v69, s[0:1], v1, v15, s[0:1]
	v_lshlrev_b64 v[2:3], 4, v[2:3]
	v_add_co_u32_e64 v2, s[0:1], s8, v2
	v_addc_co_u32_e64 v3, s[0:1], v1, v3, s[0:1]
	global_load_dwordx4 v[30:33], v[6:7], off glc slc
	global_load_dwordx4 v[26:29], v[4:5], off glc slc
                                        ; kill: killed $vgpr4 killed $vgpr5
                                        ; kill: killed $vgpr6 killed $vgpr7
	global_load_dwordx4 v[22:25], v[8:9], off glc slc
	global_load_dwordx4 v[18:21], v[10:11], off glc slc
	;; [unrolled: 1-line block ×3, first 2 shown]
	s_nop 0
	global_load_dwordx4 v[10:13], v[66:67], off glc slc
	global_load_dwordx4 v[6:9], v[68:69], off glc slc
	s_nop 0
	global_load_dwordx4 v[2:5], v[2:3], off glc slc
	s_waitcnt vmcnt(12)
	v_and_b32_e32 v71, 0xffff0000, v72
	v_lshlrev_b32_e32 v72, 16, v72
	v_and_b32_e32 v69, 0xffff0000, v73
	v_lshlrev_b32_e32 v70, 16, v73
	;; [unrolled: 2-line block ×4, first 2 shown]
.LBB7_2:
	s_or_b64 exec, exec, s[12:13]
	v_lshlrev_b32_e32 v73, 16, v62
	v_mul_f32_e32 v74, v72, v73
	s_mov_b32 s0, 0x7f800000
	v_and_b32_e32 v73, 0x7f800000, v74
	v_cmp_ne_u32_e64 s[0:1], s0, v73
                                        ; implicit-def: $vgpr73
	s_and_saveexec_b64 s[8:9], s[0:1]
	s_xor_b64 s[0:1], exec, s[8:9]
; %bb.3:
	v_bfe_u32 v73, v74, 16, 1
	s_movk_i32 s7, 0x7fff
	v_add3_u32 v73, v74, v73, s7
                                        ; implicit-def: $vgpr74
; %bb.4:
	s_andn2_saveexec_b64 s[8:9], s[0:1]
; %bb.5:
	v_mov_b32_e32 v73, 0
	v_or_b32_e32 v75, 0x10000, v74
	v_cmp_eq_u32_sdwa s[0:1], v74, v73 src0_sel:WORD_0 src1_sel:DWORD
	v_cndmask_b32_e64 v73, v75, v74, s[0:1]
; %bb.6:
	s_or_b64 exec, exec, s[8:9]
	v_and_b32_e32 v62, 0xffff0000, v62
	v_mul_f32_e32 v74, v71, v62
	s_mov_b32 s0, 0x7f800000
	v_and_b32_e32 v62, 0x7f800000, v74
	v_cmp_ne_u32_e64 s[0:1], s0, v62
                                        ; implicit-def: $vgpr62
	s_and_saveexec_b64 s[8:9], s[0:1]
	s_xor_b64 s[0:1], exec, s[8:9]
; %bb.7:
	v_bfe_u32 v62, v74, 16, 1
	s_movk_i32 s7, 0x7fff
	v_add3_u32 v62, v74, v62, s7
                                        ; implicit-def: $vgpr74
; %bb.8:
	s_andn2_saveexec_b64 s[8:9], s[0:1]
; %bb.9:
	v_mov_b32_e32 v62, 0
	v_or_b32_e32 v75, 0x10000, v74
	v_cmp_eq_u32_sdwa s[0:1], v74, v62 src0_sel:WORD_0 src1_sel:DWORD
	v_cndmask_b32_e64 v62, v75, v74, s[0:1]
; %bb.10:
	s_or_b64 exec, exec, s[8:9]
	v_and_b32_e32 v74, 0xffff0000, v73
	v_lshlrev_b32_e32 v73, 16, v63
	v_fmac_f32_e32 v74, v73, v70
	s_mov_b32 s0, 0x7f800000
	v_and_b32_e32 v73, 0x7f800000, v74
	v_cmp_ne_u32_e64 s[0:1], s0, v73
                                        ; implicit-def: $vgpr73
	s_and_saveexec_b64 s[8:9], s[0:1]
	s_xor_b64 s[0:1], exec, s[8:9]
; %bb.11:
	v_bfe_u32 v73, v74, 16, 1
	s_movk_i32 s7, 0x7fff
	v_add3_u32 v73, v74, v73, s7
                                        ; implicit-def: $vgpr74
; %bb.12:
	s_andn2_saveexec_b64 s[8:9], s[0:1]
; %bb.13:
	v_mov_b32_e32 v73, 0
	v_or_b32_e32 v75, 0x10000, v74
	v_cmp_eq_u32_sdwa s[0:1], v74, v73 src0_sel:WORD_0 src1_sel:DWORD
	v_cndmask_b32_e64 v73, v75, v74, s[0:1]
; %bb.14:
	s_or_b64 exec, exec, s[8:9]
	v_and_b32_e32 v74, 0xffff0000, v62
	v_and_b32_e32 v62, 0xffff0000, v63
	v_fmac_f32_e32 v74, v62, v69
	s_mov_b32 s0, 0x7f800000
	v_and_b32_e32 v62, 0x7f800000, v74
	v_cmp_ne_u32_e64 s[0:1], s0, v62
                                        ; implicit-def: $vgpr62
	s_and_saveexec_b64 s[8:9], s[0:1]
	s_xor_b64 s[0:1], exec, s[8:9]
; %bb.15:
	v_bfe_u32 v62, v74, 16, 1
	s_movk_i32 s7, 0x7fff
	v_add3_u32 v62, v74, v62, s7
                                        ; implicit-def: $vgpr74
; %bb.16:
	s_andn2_saveexec_b64 s[8:9], s[0:1]
; %bb.17:
	v_mov_b32_e32 v62, 0
	v_or_b32_e32 v63, 0x10000, v74
	v_cmp_eq_u32_sdwa s[0:1], v74, v62 src0_sel:WORD_0 src1_sel:DWORD
	v_cndmask_b32_e64 v62, v63, v74, s[0:1]
; %bb.18:
	s_or_b64 exec, exec, s[8:9]
	v_and_b32_e32 v73, 0xffff0000, v73
	v_lshlrev_b32_e32 v63, 16, v64
	v_fmac_f32_e32 v73, v63, v68
	s_mov_b32 s0, 0x7f800000
	v_and_b32_e32 v63, 0x7f800000, v73
	v_cmp_ne_u32_e64 s[0:1], s0, v63
                                        ; implicit-def: $vgpr63
	s_and_saveexec_b64 s[8:9], s[0:1]
	s_xor_b64 s[0:1], exec, s[8:9]
; %bb.19:
	v_bfe_u32 v63, v73, 16, 1
	s_movk_i32 s7, 0x7fff
	v_add3_u32 v63, v73, v63, s7
                                        ; implicit-def: $vgpr73
; %bb.20:
	s_andn2_saveexec_b64 s[8:9], s[0:1]
; %bb.21:
	v_mov_b32_e32 v63, 0
	v_or_b32_e32 v74, 0x10000, v73
	v_cmp_eq_u32_sdwa s[0:1], v73, v63 src0_sel:WORD_0 src1_sel:DWORD
	v_cndmask_b32_e64 v63, v74, v73, s[0:1]
; %bb.22:
	s_or_b64 exec, exec, s[8:9]
	v_and_b32_e32 v62, 0xffff0000, v62
	v_and_b32_e32 v64, 0xffff0000, v64
	v_fmac_f32_e32 v62, v64, v67
	s_mov_b32 s0, 0x7f800000
	v_and_b32_e32 v64, 0x7f800000, v62
	v_cmp_ne_u32_e64 s[0:1], s0, v64
                                        ; implicit-def: $vgpr64
	s_and_saveexec_b64 s[8:9], s[0:1]
	s_xor_b64 s[0:1], exec, s[8:9]
; %bb.23:
	v_bfe_u32 v64, v62, 16, 1
	s_movk_i32 s7, 0x7fff
	v_add3_u32 v64, v62, v64, s7
                                        ; implicit-def: $vgpr62
; %bb.24:
	s_andn2_saveexec_b64 s[8:9], s[0:1]
; %bb.25:
	v_mov_b32_e32 v64, 0
	v_or_b32_e32 v73, 0x10000, v62
	v_cmp_eq_u32_sdwa s[0:1], v62, v64 src0_sel:WORD_0 src1_sel:DWORD
	v_cndmask_b32_e64 v64, v73, v62, s[0:1]
; %bb.26:
	s_or_b64 exec, exec, s[8:9]
	v_and_b32_e32 v63, 0xffff0000, v63
	v_lshlrev_b32_e32 v62, 16, v65
	v_fmac_f32_e32 v63, v62, v1
	s_mov_b32 s0, 0x7f800000
	v_and_b32_e32 v62, 0x7f800000, v63
	v_cmp_ne_u32_e64 s[0:1], s0, v62
                                        ; implicit-def: $vgpr62
	s_and_saveexec_b64 s[8:9], s[0:1]
	s_xor_b64 s[0:1], exec, s[8:9]
; %bb.27:
	v_bfe_u32 v62, v63, 16, 1
	s_movk_i32 s7, 0x7fff
	v_add3_u32 v62, v63, v62, s7
                                        ; implicit-def: $vgpr63
; %bb.28:
	s_andn2_saveexec_b64 s[8:9], s[0:1]
; %bb.29:
	v_mov_b32_e32 v62, 0
	v_or_b32_e32 v73, 0x10000, v63
	v_cmp_eq_u32_sdwa s[0:1], v63, v62 src0_sel:WORD_0 src1_sel:DWORD
	v_cndmask_b32_e64 v62, v73, v63, s[0:1]
; %bb.30:
	s_or_b64 exec, exec, s[8:9]
	v_and_b32_e32 v64, 0xffff0000, v64
	v_and_b32_e32 v63, 0xffff0000, v65
	v_fmac_f32_e32 v64, v63, v66
	s_mov_b32 s0, 0x7f800000
	v_and_b32_e32 v63, 0x7f800000, v64
	v_cmp_ne_u32_e64 s[0:1], s0, v63
                                        ; implicit-def: $vgpr63
	s_and_saveexec_b64 s[8:9], s[0:1]
	s_xor_b64 s[0:1], exec, s[8:9]
; %bb.31:
	v_bfe_u32 v63, v64, 16, 1
	s_movk_i32 s7, 0x7fff
	v_add3_u32 v63, v64, v63, s7
                                        ; implicit-def: $vgpr64
; %bb.32:
	s_andn2_saveexec_b64 s[8:9], s[0:1]
; %bb.33:
	v_mov_b32_e32 v63, 0
	v_or_b32_e32 v65, 0x10000, v64
	v_cmp_eq_u32_sdwa s[0:1], v64, v63 src0_sel:WORD_0 src1_sel:DWORD
	v_cndmask_b32_e64 v63, v65, v64, s[0:1]
; %bb.34:
	s_or_b64 exec, exec, s[8:9]
	v_lshlrev_b32_e32 v64, 16, v58
	v_mul_f32_e32 v65, v72, v64
	s_mov_b32 s0, 0x7f800000
	v_and_b32_e32 v64, 0x7f800000, v65
	v_cmp_ne_u32_e64 s[0:1], s0, v64
                                        ; implicit-def: $vgpr64
	s_and_saveexec_b64 s[8:9], s[0:1]
	s_xor_b64 s[0:1], exec, s[8:9]
; %bb.35:
	v_bfe_u32 v64, v65, 16, 1
	s_movk_i32 s7, 0x7fff
	v_add3_u32 v64, v65, v64, s7
                                        ; implicit-def: $vgpr65
; %bb.36:
	s_andn2_saveexec_b64 s[8:9], s[0:1]
; %bb.37:
	v_mov_b32_e32 v64, 0
	v_or_b32_e32 v73, 0x10000, v65
	v_cmp_eq_u32_sdwa s[0:1], v65, v64 src0_sel:WORD_0 src1_sel:DWORD
	v_cndmask_b32_e64 v64, v73, v65, s[0:1]
; %bb.38:
	s_or_b64 exec, exec, s[8:9]
	v_and_b32_e32 v58, 0xffff0000, v58
	v_mul_f32_e32 v65, v71, v58
	s_mov_b32 s0, 0x7f800000
	v_and_b32_e32 v58, 0x7f800000, v65
	v_cmp_ne_u32_e64 s[0:1], s0, v58
                                        ; implicit-def: $vgpr58
	s_and_saveexec_b64 s[8:9], s[0:1]
	s_xor_b64 s[0:1], exec, s[8:9]
; %bb.39:
	v_bfe_u32 v58, v65, 16, 1
	s_movk_i32 s7, 0x7fff
	v_add3_u32 v58, v65, v58, s7
                                        ; implicit-def: $vgpr65
; %bb.40:
	s_andn2_saveexec_b64 s[8:9], s[0:1]
; %bb.41:
	v_mov_b32_e32 v58, 0
	v_or_b32_e32 v73, 0x10000, v65
	v_cmp_eq_u32_sdwa s[0:1], v65, v58 src0_sel:WORD_0 src1_sel:DWORD
	v_cndmask_b32_e64 v58, v73, v65, s[0:1]
; %bb.42:
	s_or_b64 exec, exec, s[8:9]
	v_and_b32_e32 v65, 0xffff0000, v64
	v_lshlrev_b32_e32 v64, 16, v59
	v_fmac_f32_e32 v65, v64, v70
	s_mov_b32 s0, 0x7f800000
	v_and_b32_e32 v64, 0x7f800000, v65
	v_cmp_ne_u32_e64 s[0:1], s0, v64
                                        ; implicit-def: $vgpr64
	s_and_saveexec_b64 s[8:9], s[0:1]
	s_xor_b64 s[0:1], exec, s[8:9]
; %bb.43:
	v_bfe_u32 v64, v65, 16, 1
	s_movk_i32 s7, 0x7fff
	v_add3_u32 v64, v65, v64, s7
                                        ; implicit-def: $vgpr65
; %bb.44:
	s_andn2_saveexec_b64 s[8:9], s[0:1]
; %bb.45:
	v_mov_b32_e32 v64, 0
	v_or_b32_e32 v73, 0x10000, v65
	v_cmp_eq_u32_sdwa s[0:1], v65, v64 src0_sel:WORD_0 src1_sel:DWORD
	v_cndmask_b32_e64 v64, v73, v65, s[0:1]
; %bb.46:
	s_or_b64 exec, exec, s[8:9]
	v_and_b32_e32 v65, 0xffff0000, v58
	v_and_b32_e32 v58, 0xffff0000, v59
	v_fmac_f32_e32 v65, v58, v69
	s_mov_b32 s0, 0x7f800000
	v_and_b32_e32 v58, 0x7f800000, v65
	v_cmp_ne_u32_e64 s[0:1], s0, v58
                                        ; implicit-def: $vgpr58
	s_and_saveexec_b64 s[8:9], s[0:1]
	s_xor_b64 s[0:1], exec, s[8:9]
; %bb.47:
	v_bfe_u32 v58, v65, 16, 1
	s_movk_i32 s7, 0x7fff
	v_add3_u32 v58, v65, v58, s7
                                        ; implicit-def: $vgpr65
; %bb.48:
	s_andn2_saveexec_b64 s[8:9], s[0:1]
; %bb.49:
	v_mov_b32_e32 v58, 0
	v_or_b32_e32 v59, 0x10000, v65
	v_cmp_eq_u32_sdwa s[0:1], v65, v58 src0_sel:WORD_0 src1_sel:DWORD
	v_cndmask_b32_e64 v58, v59, v65, s[0:1]
; %bb.50:
	s_or_b64 exec, exec, s[8:9]
	v_and_b32_e32 v64, 0xffff0000, v64
	v_lshlrev_b32_e32 v59, 16, v60
	v_fmac_f32_e32 v64, v59, v68
	s_mov_b32 s0, 0x7f800000
	v_and_b32_e32 v59, 0x7f800000, v64
	v_cmp_ne_u32_e64 s[0:1], s0, v59
                                        ; implicit-def: $vgpr59
	s_and_saveexec_b64 s[8:9], s[0:1]
	s_xor_b64 s[0:1], exec, s[8:9]
; %bb.51:
	v_bfe_u32 v59, v64, 16, 1
	s_movk_i32 s7, 0x7fff
	v_add3_u32 v59, v64, v59, s7
                                        ; implicit-def: $vgpr64
; %bb.52:
	s_andn2_saveexec_b64 s[8:9], s[0:1]
; %bb.53:
	v_mov_b32_e32 v59, 0
	v_or_b32_e32 v65, 0x10000, v64
	v_cmp_eq_u32_sdwa s[0:1], v64, v59 src0_sel:WORD_0 src1_sel:DWORD
	v_cndmask_b32_e64 v59, v65, v64, s[0:1]
; %bb.54:
	s_or_b64 exec, exec, s[8:9]
	v_and_b32_e32 v58, 0xffff0000, v58
	v_and_b32_e32 v60, 0xffff0000, v60
	v_fmac_f32_e32 v58, v60, v67
	s_mov_b32 s0, 0x7f800000
	v_and_b32_e32 v60, 0x7f800000, v58
	v_cmp_ne_u32_e64 s[0:1], s0, v60
                                        ; implicit-def: $vgpr60
	s_and_saveexec_b64 s[8:9], s[0:1]
	s_xor_b64 s[0:1], exec, s[8:9]
; %bb.55:
	v_bfe_u32 v60, v58, 16, 1
	s_movk_i32 s7, 0x7fff
	v_add3_u32 v60, v58, v60, s7
                                        ; implicit-def: $vgpr58
; %bb.56:
	s_andn2_saveexec_b64 s[8:9], s[0:1]
; %bb.57:
	v_mov_b32_e32 v60, 0
	v_or_b32_e32 v64, 0x10000, v58
	v_cmp_eq_u32_sdwa s[0:1], v58, v60 src0_sel:WORD_0 src1_sel:DWORD
	v_cndmask_b32_e64 v60, v64, v58, s[0:1]
; %bb.58:
	s_or_b64 exec, exec, s[8:9]
	v_and_b32_e32 v59, 0xffff0000, v59
	v_lshlrev_b32_e32 v58, 16, v61
	v_fmac_f32_e32 v59, v58, v1
	s_mov_b32 s0, 0x7f800000
	v_and_b32_e32 v58, 0x7f800000, v59
	v_cmp_ne_u32_e64 s[0:1], s0, v58
                                        ; implicit-def: $vgpr58
	s_and_saveexec_b64 s[8:9], s[0:1]
	s_xor_b64 s[0:1], exec, s[8:9]
; %bb.59:
	v_bfe_u32 v58, v59, 16, 1
	s_movk_i32 s7, 0x7fff
	v_add3_u32 v58, v59, v58, s7
                                        ; implicit-def: $vgpr59
; %bb.60:
	s_andn2_saveexec_b64 s[8:9], s[0:1]
; %bb.61:
	v_mov_b32_e32 v58, 0
	v_or_b32_e32 v64, 0x10000, v59
	v_cmp_eq_u32_sdwa s[0:1], v59, v58 src0_sel:WORD_0 src1_sel:DWORD
	v_cndmask_b32_e64 v58, v64, v59, s[0:1]
; %bb.62:
	s_or_b64 exec, exec, s[8:9]
	v_and_b32_e32 v60, 0xffff0000, v60
	v_and_b32_e32 v59, 0xffff0000, v61
	v_fmac_f32_e32 v60, v59, v66
	s_mov_b32 s0, 0x7f800000
	v_and_b32_e32 v59, 0x7f800000, v60
	v_cmp_ne_u32_e64 s[0:1], s0, v59
                                        ; implicit-def: $vgpr59
	s_and_saveexec_b64 s[8:9], s[0:1]
	s_xor_b64 s[0:1], exec, s[8:9]
; %bb.63:
	v_bfe_u32 v59, v60, 16, 1
	s_movk_i32 s7, 0x7fff
	v_add3_u32 v59, v60, v59, s7
                                        ; implicit-def: $vgpr60
; %bb.64:
	s_andn2_saveexec_b64 s[8:9], s[0:1]
; %bb.65:
	v_mov_b32_e32 v59, 0
	v_or_b32_e32 v61, 0x10000, v60
	v_cmp_eq_u32_sdwa s[0:1], v60, v59 src0_sel:WORD_0 src1_sel:DWORD
	v_cndmask_b32_e64 v59, v61, v60, s[0:1]
; %bb.66:
	s_or_b64 exec, exec, s[8:9]
	v_lshlrev_b32_e32 v60, 16, v54
	v_mul_f32_e32 v61, v72, v60
	s_mov_b32 s0, 0x7f800000
	v_and_b32_e32 v60, 0x7f800000, v61
	v_cmp_ne_u32_e64 s[0:1], s0, v60
                                        ; implicit-def: $vgpr60
	s_and_saveexec_b64 s[8:9], s[0:1]
	s_xor_b64 s[0:1], exec, s[8:9]
; %bb.67:
	v_bfe_u32 v60, v61, 16, 1
	s_movk_i32 s7, 0x7fff
	v_add3_u32 v60, v61, v60, s7
                                        ; implicit-def: $vgpr61
; %bb.68:
	s_andn2_saveexec_b64 s[8:9], s[0:1]
; %bb.69:
	v_mov_b32_e32 v60, 0
	v_or_b32_e32 v64, 0x10000, v61
	v_cmp_eq_u32_sdwa s[0:1], v61, v60 src0_sel:WORD_0 src1_sel:DWORD
	v_cndmask_b32_e64 v60, v64, v61, s[0:1]
; %bb.70:
	s_or_b64 exec, exec, s[8:9]
	v_and_b32_e32 v54, 0xffff0000, v54
	v_mul_f32_e32 v61, v71, v54
	s_mov_b32 s0, 0x7f800000
	v_and_b32_e32 v54, 0x7f800000, v61
	v_cmp_ne_u32_e64 s[0:1], s0, v54
                                        ; implicit-def: $vgpr54
	s_and_saveexec_b64 s[8:9], s[0:1]
	s_xor_b64 s[0:1], exec, s[8:9]
; %bb.71:
	v_bfe_u32 v54, v61, 16, 1
	s_movk_i32 s7, 0x7fff
	v_add3_u32 v54, v61, v54, s7
                                        ; implicit-def: $vgpr61
; %bb.72:
	s_andn2_saveexec_b64 s[8:9], s[0:1]
; %bb.73:
	v_mov_b32_e32 v54, 0
	v_or_b32_e32 v64, 0x10000, v61
	v_cmp_eq_u32_sdwa s[0:1], v61, v54 src0_sel:WORD_0 src1_sel:DWORD
	v_cndmask_b32_e64 v54, v64, v61, s[0:1]
; %bb.74:
	s_or_b64 exec, exec, s[8:9]
	v_and_b32_e32 v61, 0xffff0000, v60
	v_lshlrev_b32_e32 v60, 16, v55
	v_fmac_f32_e32 v61, v60, v70
	s_mov_b32 s0, 0x7f800000
	v_and_b32_e32 v60, 0x7f800000, v61
	v_cmp_ne_u32_e64 s[0:1], s0, v60
                                        ; implicit-def: $vgpr60
	s_and_saveexec_b64 s[8:9], s[0:1]
	s_xor_b64 s[0:1], exec, s[8:9]
; %bb.75:
	v_bfe_u32 v60, v61, 16, 1
	s_movk_i32 s7, 0x7fff
	v_add3_u32 v60, v61, v60, s7
                                        ; implicit-def: $vgpr61
; %bb.76:
	s_andn2_saveexec_b64 s[8:9], s[0:1]
; %bb.77:
	v_mov_b32_e32 v60, 0
	v_or_b32_e32 v64, 0x10000, v61
	v_cmp_eq_u32_sdwa s[0:1], v61, v60 src0_sel:WORD_0 src1_sel:DWORD
	v_cndmask_b32_e64 v60, v64, v61, s[0:1]
; %bb.78:
	s_or_b64 exec, exec, s[8:9]
	v_and_b32_e32 v61, 0xffff0000, v54
	v_and_b32_e32 v54, 0xffff0000, v55
	v_fmac_f32_e32 v61, v54, v69
	s_mov_b32 s0, 0x7f800000
	v_and_b32_e32 v54, 0x7f800000, v61
	v_cmp_ne_u32_e64 s[0:1], s0, v54
                                        ; implicit-def: $vgpr54
	s_and_saveexec_b64 s[8:9], s[0:1]
	s_xor_b64 s[0:1], exec, s[8:9]
; %bb.79:
	v_bfe_u32 v54, v61, 16, 1
	s_movk_i32 s7, 0x7fff
	v_add3_u32 v54, v61, v54, s7
                                        ; implicit-def: $vgpr61
; %bb.80:
	s_andn2_saveexec_b64 s[8:9], s[0:1]
; %bb.81:
	v_mov_b32_e32 v54, 0
	v_or_b32_e32 v55, 0x10000, v61
	v_cmp_eq_u32_sdwa s[0:1], v61, v54 src0_sel:WORD_0 src1_sel:DWORD
	v_cndmask_b32_e64 v54, v55, v61, s[0:1]
; %bb.82:
	s_or_b64 exec, exec, s[8:9]
	v_and_b32_e32 v60, 0xffff0000, v60
	v_lshlrev_b32_e32 v55, 16, v56
	v_fmac_f32_e32 v60, v55, v68
	s_mov_b32 s0, 0x7f800000
	v_and_b32_e32 v55, 0x7f800000, v60
	v_cmp_ne_u32_e64 s[0:1], s0, v55
                                        ; implicit-def: $vgpr55
	s_and_saveexec_b64 s[8:9], s[0:1]
	s_xor_b64 s[0:1], exec, s[8:9]
; %bb.83:
	v_bfe_u32 v55, v60, 16, 1
	s_movk_i32 s7, 0x7fff
	v_add3_u32 v55, v60, v55, s7
                                        ; implicit-def: $vgpr60
; %bb.84:
	s_andn2_saveexec_b64 s[8:9], s[0:1]
; %bb.85:
	v_mov_b32_e32 v55, 0
	v_or_b32_e32 v61, 0x10000, v60
	v_cmp_eq_u32_sdwa s[0:1], v60, v55 src0_sel:WORD_0 src1_sel:DWORD
	v_cndmask_b32_e64 v55, v61, v60, s[0:1]
; %bb.86:
	s_or_b64 exec, exec, s[8:9]
	v_and_b32_e32 v54, 0xffff0000, v54
	v_and_b32_e32 v56, 0xffff0000, v56
	v_fmac_f32_e32 v54, v56, v67
	s_mov_b32 s0, 0x7f800000
	v_and_b32_e32 v56, 0x7f800000, v54
	v_cmp_ne_u32_e64 s[0:1], s0, v56
                                        ; implicit-def: $vgpr56
	s_and_saveexec_b64 s[8:9], s[0:1]
	s_xor_b64 s[0:1], exec, s[8:9]
; %bb.87:
	v_bfe_u32 v56, v54, 16, 1
	s_movk_i32 s7, 0x7fff
	v_add3_u32 v56, v54, v56, s7
                                        ; implicit-def: $vgpr54
; %bb.88:
	s_andn2_saveexec_b64 s[8:9], s[0:1]
; %bb.89:
	v_mov_b32_e32 v56, 0
	v_or_b32_e32 v60, 0x10000, v54
	v_cmp_eq_u32_sdwa s[0:1], v54, v56 src0_sel:WORD_0 src1_sel:DWORD
	v_cndmask_b32_e64 v56, v60, v54, s[0:1]
; %bb.90:
	s_or_b64 exec, exec, s[8:9]
	v_and_b32_e32 v55, 0xffff0000, v55
	v_lshlrev_b32_e32 v54, 16, v57
	v_fmac_f32_e32 v55, v54, v1
	s_mov_b32 s0, 0x7f800000
	v_and_b32_e32 v54, 0x7f800000, v55
	v_cmp_ne_u32_e64 s[0:1], s0, v54
                                        ; implicit-def: $vgpr54
	s_and_saveexec_b64 s[8:9], s[0:1]
	s_xor_b64 s[0:1], exec, s[8:9]
; %bb.91:
	v_bfe_u32 v54, v55, 16, 1
	s_movk_i32 s7, 0x7fff
	v_add3_u32 v54, v55, v54, s7
                                        ; implicit-def: $vgpr55
; %bb.92:
	s_andn2_saveexec_b64 s[8:9], s[0:1]
; %bb.93:
	v_mov_b32_e32 v54, 0
	v_or_b32_e32 v60, 0x10000, v55
	v_cmp_eq_u32_sdwa s[0:1], v55, v54 src0_sel:WORD_0 src1_sel:DWORD
	v_cndmask_b32_e64 v54, v60, v55, s[0:1]
; %bb.94:
	s_or_b64 exec, exec, s[8:9]
	v_and_b32_e32 v56, 0xffff0000, v56
	v_and_b32_e32 v55, 0xffff0000, v57
	v_fmac_f32_e32 v56, v55, v66
	s_mov_b32 s0, 0x7f800000
	v_and_b32_e32 v55, 0x7f800000, v56
	v_cmp_ne_u32_e64 s[0:1], s0, v55
                                        ; implicit-def: $vgpr55
	s_and_saveexec_b64 s[8:9], s[0:1]
	s_xor_b64 s[0:1], exec, s[8:9]
; %bb.95:
	v_bfe_u32 v55, v56, 16, 1
	s_movk_i32 s7, 0x7fff
	v_add3_u32 v55, v56, v55, s7
                                        ; implicit-def: $vgpr56
; %bb.96:
	s_andn2_saveexec_b64 s[8:9], s[0:1]
; %bb.97:
	v_mov_b32_e32 v55, 0
	v_or_b32_e32 v57, 0x10000, v56
	v_cmp_eq_u32_sdwa s[0:1], v56, v55 src0_sel:WORD_0 src1_sel:DWORD
	v_cndmask_b32_e64 v55, v57, v56, s[0:1]
; %bb.98:
	s_or_b64 exec, exec, s[8:9]
	v_lshlrev_b32_e32 v56, 16, v50
	v_mul_f32_e32 v57, v72, v56
	s_mov_b32 s0, 0x7f800000
	v_and_b32_e32 v56, 0x7f800000, v57
	v_cmp_ne_u32_e64 s[0:1], s0, v56
                                        ; implicit-def: $vgpr56
	s_and_saveexec_b64 s[8:9], s[0:1]
	s_xor_b64 s[0:1], exec, s[8:9]
; %bb.99:
	v_bfe_u32 v56, v57, 16, 1
	s_movk_i32 s7, 0x7fff
	v_add3_u32 v56, v57, v56, s7
                                        ; implicit-def: $vgpr57
; %bb.100:
	s_andn2_saveexec_b64 s[8:9], s[0:1]
; %bb.101:
	v_mov_b32_e32 v56, 0
	v_or_b32_e32 v60, 0x10000, v57
	v_cmp_eq_u32_sdwa s[0:1], v57, v56 src0_sel:WORD_0 src1_sel:DWORD
	v_cndmask_b32_e64 v56, v60, v57, s[0:1]
; %bb.102:
	s_or_b64 exec, exec, s[8:9]
	v_and_b32_e32 v50, 0xffff0000, v50
	v_mul_f32_e32 v57, v71, v50
	s_mov_b32 s0, 0x7f800000
	v_and_b32_e32 v50, 0x7f800000, v57
	v_cmp_ne_u32_e64 s[0:1], s0, v50
                                        ; implicit-def: $vgpr50
	s_and_saveexec_b64 s[8:9], s[0:1]
	s_xor_b64 s[0:1], exec, s[8:9]
; %bb.103:
	v_bfe_u32 v50, v57, 16, 1
	s_movk_i32 s7, 0x7fff
	v_add3_u32 v50, v57, v50, s7
                                        ; implicit-def: $vgpr57
; %bb.104:
	s_andn2_saveexec_b64 s[8:9], s[0:1]
; %bb.105:
	v_mov_b32_e32 v50, 0
	v_or_b32_e32 v60, 0x10000, v57
	v_cmp_eq_u32_sdwa s[0:1], v57, v50 src0_sel:WORD_0 src1_sel:DWORD
	v_cndmask_b32_e64 v50, v60, v57, s[0:1]
; %bb.106:
	s_or_b64 exec, exec, s[8:9]
	v_and_b32_e32 v57, 0xffff0000, v56
	v_lshlrev_b32_e32 v56, 16, v51
	v_fmac_f32_e32 v57, v56, v70
	s_mov_b32 s0, 0x7f800000
	v_and_b32_e32 v56, 0x7f800000, v57
	v_cmp_ne_u32_e64 s[0:1], s0, v56
                                        ; implicit-def: $vgpr56
	s_and_saveexec_b64 s[8:9], s[0:1]
	s_xor_b64 s[0:1], exec, s[8:9]
; %bb.107:
	v_bfe_u32 v56, v57, 16, 1
	s_movk_i32 s7, 0x7fff
	v_add3_u32 v56, v57, v56, s7
                                        ; implicit-def: $vgpr57
; %bb.108:
	s_andn2_saveexec_b64 s[8:9], s[0:1]
; %bb.109:
	v_mov_b32_e32 v56, 0
	v_or_b32_e32 v60, 0x10000, v57
	v_cmp_eq_u32_sdwa s[0:1], v57, v56 src0_sel:WORD_0 src1_sel:DWORD
	v_cndmask_b32_e64 v56, v60, v57, s[0:1]
; %bb.110:
	s_or_b64 exec, exec, s[8:9]
	v_and_b32_e32 v57, 0xffff0000, v50
	v_and_b32_e32 v50, 0xffff0000, v51
	v_fmac_f32_e32 v57, v50, v69
	s_mov_b32 s0, 0x7f800000
	v_and_b32_e32 v50, 0x7f800000, v57
	v_cmp_ne_u32_e64 s[0:1], s0, v50
                                        ; implicit-def: $vgpr50
	s_and_saveexec_b64 s[8:9], s[0:1]
	s_xor_b64 s[0:1], exec, s[8:9]
; %bb.111:
	v_bfe_u32 v50, v57, 16, 1
	s_movk_i32 s7, 0x7fff
	v_add3_u32 v50, v57, v50, s7
                                        ; implicit-def: $vgpr57
; %bb.112:
	s_andn2_saveexec_b64 s[8:9], s[0:1]
; %bb.113:
	v_mov_b32_e32 v50, 0
	v_or_b32_e32 v51, 0x10000, v57
	v_cmp_eq_u32_sdwa s[0:1], v57, v50 src0_sel:WORD_0 src1_sel:DWORD
	v_cndmask_b32_e64 v50, v51, v57, s[0:1]
; %bb.114:
	s_or_b64 exec, exec, s[8:9]
	v_and_b32_e32 v56, 0xffff0000, v56
	v_lshlrev_b32_e32 v51, 16, v52
	v_fmac_f32_e32 v56, v51, v68
	s_mov_b32 s0, 0x7f800000
	v_and_b32_e32 v51, 0x7f800000, v56
	v_cmp_ne_u32_e64 s[0:1], s0, v51
                                        ; implicit-def: $vgpr51
	s_and_saveexec_b64 s[8:9], s[0:1]
	s_xor_b64 s[0:1], exec, s[8:9]
; %bb.115:
	v_bfe_u32 v51, v56, 16, 1
	s_movk_i32 s7, 0x7fff
	v_add3_u32 v51, v56, v51, s7
                                        ; implicit-def: $vgpr56
; %bb.116:
	s_andn2_saveexec_b64 s[8:9], s[0:1]
; %bb.117:
	v_mov_b32_e32 v51, 0
	v_or_b32_e32 v57, 0x10000, v56
	v_cmp_eq_u32_sdwa s[0:1], v56, v51 src0_sel:WORD_0 src1_sel:DWORD
	v_cndmask_b32_e64 v51, v57, v56, s[0:1]
; %bb.118:
	s_or_b64 exec, exec, s[8:9]
	v_and_b32_e32 v50, 0xffff0000, v50
	v_and_b32_e32 v52, 0xffff0000, v52
	v_fmac_f32_e32 v50, v52, v67
	s_mov_b32 s0, 0x7f800000
	v_and_b32_e32 v52, 0x7f800000, v50
	v_cmp_ne_u32_e64 s[0:1], s0, v52
                                        ; implicit-def: $vgpr52
	s_and_saveexec_b64 s[8:9], s[0:1]
	s_xor_b64 s[0:1], exec, s[8:9]
; %bb.119:
	v_bfe_u32 v52, v50, 16, 1
	s_movk_i32 s7, 0x7fff
	v_add3_u32 v52, v50, v52, s7
                                        ; implicit-def: $vgpr50
; %bb.120:
	s_andn2_saveexec_b64 s[8:9], s[0:1]
; %bb.121:
	v_mov_b32_e32 v52, 0
	v_or_b32_e32 v56, 0x10000, v50
	v_cmp_eq_u32_sdwa s[0:1], v50, v52 src0_sel:WORD_0 src1_sel:DWORD
	v_cndmask_b32_e64 v52, v56, v50, s[0:1]
; %bb.122:
	s_or_b64 exec, exec, s[8:9]
	v_and_b32_e32 v51, 0xffff0000, v51
	v_lshlrev_b32_e32 v50, 16, v53
	v_fmac_f32_e32 v51, v50, v1
	s_mov_b32 s0, 0x7f800000
	v_and_b32_e32 v50, 0x7f800000, v51
	v_cmp_ne_u32_e64 s[0:1], s0, v50
                                        ; implicit-def: $vgpr50
	s_and_saveexec_b64 s[8:9], s[0:1]
	s_xor_b64 s[0:1], exec, s[8:9]
; %bb.123:
	v_bfe_u32 v50, v51, 16, 1
	s_movk_i32 s7, 0x7fff
	v_add3_u32 v50, v51, v50, s7
                                        ; implicit-def: $vgpr51
; %bb.124:
	s_andn2_saveexec_b64 s[8:9], s[0:1]
; %bb.125:
	v_mov_b32_e32 v50, 0
	v_or_b32_e32 v56, 0x10000, v51
	v_cmp_eq_u32_sdwa s[0:1], v51, v50 src0_sel:WORD_0 src1_sel:DWORD
	v_cndmask_b32_e64 v50, v56, v51, s[0:1]
; %bb.126:
	s_or_b64 exec, exec, s[8:9]
	v_and_b32_e32 v52, 0xffff0000, v52
	v_and_b32_e32 v51, 0xffff0000, v53
	v_fmac_f32_e32 v52, v51, v66
	s_mov_b32 s0, 0x7f800000
	v_and_b32_e32 v51, 0x7f800000, v52
	v_cmp_ne_u32_e64 s[0:1], s0, v51
                                        ; implicit-def: $vgpr51
	s_and_saveexec_b64 s[8:9], s[0:1]
	s_xor_b64 s[0:1], exec, s[8:9]
; %bb.127:
	v_bfe_u32 v51, v52, 16, 1
	s_movk_i32 s7, 0x7fff
	v_add3_u32 v51, v52, v51, s7
                                        ; implicit-def: $vgpr52
; %bb.128:
	s_andn2_saveexec_b64 s[8:9], s[0:1]
; %bb.129:
	v_mov_b32_e32 v51, 0
	v_or_b32_e32 v53, 0x10000, v52
	v_cmp_eq_u32_sdwa s[0:1], v52, v51 src0_sel:WORD_0 src1_sel:DWORD
	v_cndmask_b32_e64 v51, v53, v52, s[0:1]
; %bb.130:
	s_or_b64 exec, exec, s[8:9]
	s_waitcnt vmcnt(11)
	v_lshlrev_b32_e32 v52, 16, v46
	v_mul_f32_e32 v53, v72, v52
	s_mov_b32 s0, 0x7f800000
	v_and_b32_e32 v52, 0x7f800000, v53
	v_cmp_ne_u32_e64 s[0:1], s0, v52
                                        ; implicit-def: $vgpr52
	s_and_saveexec_b64 s[8:9], s[0:1]
	s_xor_b64 s[0:1], exec, s[8:9]
; %bb.131:
	v_bfe_u32 v52, v53, 16, 1
	s_movk_i32 s7, 0x7fff
	v_add3_u32 v52, v53, v52, s7
                                        ; implicit-def: $vgpr53
; %bb.132:
	s_andn2_saveexec_b64 s[8:9], s[0:1]
; %bb.133:
	v_mov_b32_e32 v52, 0
	v_or_b32_e32 v56, 0x10000, v53
	v_cmp_eq_u32_sdwa s[0:1], v53, v52 src0_sel:WORD_0 src1_sel:DWORD
	v_cndmask_b32_e64 v52, v56, v53, s[0:1]
; %bb.134:
	s_or_b64 exec, exec, s[8:9]
	v_and_b32_e32 v46, 0xffff0000, v46
	v_mul_f32_e32 v53, v71, v46
	s_mov_b32 s0, 0x7f800000
	v_and_b32_e32 v46, 0x7f800000, v53
	v_cmp_ne_u32_e64 s[0:1], s0, v46
                                        ; implicit-def: $vgpr46
	s_and_saveexec_b64 s[8:9], s[0:1]
	s_xor_b64 s[0:1], exec, s[8:9]
; %bb.135:
	v_bfe_u32 v46, v53, 16, 1
	s_movk_i32 s7, 0x7fff
	v_add3_u32 v46, v53, v46, s7
                                        ; implicit-def: $vgpr53
; %bb.136:
	s_andn2_saveexec_b64 s[8:9], s[0:1]
; %bb.137:
	v_mov_b32_e32 v46, 0
	v_or_b32_e32 v56, 0x10000, v53
	v_cmp_eq_u32_sdwa s[0:1], v53, v46 src0_sel:WORD_0 src1_sel:DWORD
	v_cndmask_b32_e64 v46, v56, v53, s[0:1]
; %bb.138:
	s_or_b64 exec, exec, s[8:9]
	v_and_b32_e32 v53, 0xffff0000, v52
	v_lshlrev_b32_e32 v52, 16, v47
	v_fmac_f32_e32 v53, v52, v70
	s_mov_b32 s0, 0x7f800000
	v_and_b32_e32 v52, 0x7f800000, v53
	v_cmp_ne_u32_e64 s[0:1], s0, v52
                                        ; implicit-def: $vgpr52
	s_and_saveexec_b64 s[8:9], s[0:1]
	s_xor_b64 s[0:1], exec, s[8:9]
; %bb.139:
	v_bfe_u32 v52, v53, 16, 1
	s_movk_i32 s7, 0x7fff
	v_add3_u32 v52, v53, v52, s7
                                        ; implicit-def: $vgpr53
; %bb.140:
	s_andn2_saveexec_b64 s[8:9], s[0:1]
; %bb.141:
	v_mov_b32_e32 v52, 0
	v_or_b32_e32 v56, 0x10000, v53
	v_cmp_eq_u32_sdwa s[0:1], v53, v52 src0_sel:WORD_0 src1_sel:DWORD
	v_cndmask_b32_e64 v52, v56, v53, s[0:1]
; %bb.142:
	s_or_b64 exec, exec, s[8:9]
	v_and_b32_e32 v53, 0xffff0000, v46
	v_and_b32_e32 v46, 0xffff0000, v47
	v_fmac_f32_e32 v53, v46, v69
	s_mov_b32 s0, 0x7f800000
	v_and_b32_e32 v46, 0x7f800000, v53
	v_cmp_ne_u32_e64 s[0:1], s0, v46
                                        ; implicit-def: $vgpr46
	s_and_saveexec_b64 s[8:9], s[0:1]
	s_xor_b64 s[0:1], exec, s[8:9]
; %bb.143:
	v_bfe_u32 v46, v53, 16, 1
	s_movk_i32 s7, 0x7fff
	v_add3_u32 v46, v53, v46, s7
                                        ; implicit-def: $vgpr53
; %bb.144:
	s_andn2_saveexec_b64 s[8:9], s[0:1]
; %bb.145:
	v_mov_b32_e32 v46, 0
	v_or_b32_e32 v47, 0x10000, v53
	v_cmp_eq_u32_sdwa s[0:1], v53, v46 src0_sel:WORD_0 src1_sel:DWORD
	v_cndmask_b32_e64 v46, v47, v53, s[0:1]
; %bb.146:
	s_or_b64 exec, exec, s[8:9]
	v_and_b32_e32 v52, 0xffff0000, v52
	v_lshlrev_b32_e32 v47, 16, v48
	v_fmac_f32_e32 v52, v47, v68
	s_mov_b32 s0, 0x7f800000
	v_and_b32_e32 v47, 0x7f800000, v52
	v_cmp_ne_u32_e64 s[0:1], s0, v47
                                        ; implicit-def: $vgpr47
	s_and_saveexec_b64 s[8:9], s[0:1]
	s_xor_b64 s[0:1], exec, s[8:9]
; %bb.147:
	v_bfe_u32 v47, v52, 16, 1
	s_movk_i32 s7, 0x7fff
	v_add3_u32 v47, v52, v47, s7
                                        ; implicit-def: $vgpr52
; %bb.148:
	s_andn2_saveexec_b64 s[8:9], s[0:1]
; %bb.149:
	v_mov_b32_e32 v47, 0
	v_or_b32_e32 v53, 0x10000, v52
	v_cmp_eq_u32_sdwa s[0:1], v52, v47 src0_sel:WORD_0 src1_sel:DWORD
	v_cndmask_b32_e64 v47, v53, v52, s[0:1]
; %bb.150:
	s_or_b64 exec, exec, s[8:9]
	v_and_b32_e32 v46, 0xffff0000, v46
	v_and_b32_e32 v48, 0xffff0000, v48
	v_fmac_f32_e32 v46, v48, v67
	s_mov_b32 s0, 0x7f800000
	v_and_b32_e32 v48, 0x7f800000, v46
	v_cmp_ne_u32_e64 s[0:1], s0, v48
                                        ; implicit-def: $vgpr48
	s_and_saveexec_b64 s[8:9], s[0:1]
	s_xor_b64 s[0:1], exec, s[8:9]
; %bb.151:
	v_bfe_u32 v48, v46, 16, 1
	s_movk_i32 s7, 0x7fff
	v_add3_u32 v48, v46, v48, s7
                                        ; implicit-def: $vgpr46
; %bb.152:
	s_andn2_saveexec_b64 s[8:9], s[0:1]
; %bb.153:
	v_mov_b32_e32 v48, 0
	v_or_b32_e32 v52, 0x10000, v46
	v_cmp_eq_u32_sdwa s[0:1], v46, v48 src0_sel:WORD_0 src1_sel:DWORD
	v_cndmask_b32_e64 v48, v52, v46, s[0:1]
; %bb.154:
	s_or_b64 exec, exec, s[8:9]
	v_and_b32_e32 v47, 0xffff0000, v47
	v_lshlrev_b32_e32 v46, 16, v49
	v_fmac_f32_e32 v47, v46, v1
	s_mov_b32 s0, 0x7f800000
	v_and_b32_e32 v46, 0x7f800000, v47
	v_cmp_ne_u32_e64 s[0:1], s0, v46
                                        ; implicit-def: $vgpr46
	s_and_saveexec_b64 s[8:9], s[0:1]
	s_xor_b64 s[0:1], exec, s[8:9]
; %bb.155:
	v_bfe_u32 v46, v47, 16, 1
	s_movk_i32 s7, 0x7fff
	v_add3_u32 v46, v47, v46, s7
                                        ; implicit-def: $vgpr47
; %bb.156:
	s_andn2_saveexec_b64 s[8:9], s[0:1]
; %bb.157:
	v_mov_b32_e32 v46, 0
	v_or_b32_e32 v52, 0x10000, v47
	v_cmp_eq_u32_sdwa s[0:1], v47, v46 src0_sel:WORD_0 src1_sel:DWORD
	v_cndmask_b32_e64 v46, v52, v47, s[0:1]
; %bb.158:
	s_or_b64 exec, exec, s[8:9]
	v_and_b32_e32 v48, 0xffff0000, v48
	v_and_b32_e32 v47, 0xffff0000, v49
	v_fmac_f32_e32 v48, v47, v66
	s_mov_b32 s0, 0x7f800000
	v_and_b32_e32 v47, 0x7f800000, v48
	v_cmp_ne_u32_e64 s[0:1], s0, v47
                                        ; implicit-def: $vgpr47
	s_and_saveexec_b64 s[8:9], s[0:1]
	s_xor_b64 s[0:1], exec, s[8:9]
; %bb.159:
	v_bfe_u32 v47, v48, 16, 1
	s_movk_i32 s7, 0x7fff
	v_add3_u32 v47, v48, v47, s7
                                        ; implicit-def: $vgpr48
; %bb.160:
	s_andn2_saveexec_b64 s[8:9], s[0:1]
; %bb.161:
	v_mov_b32_e32 v47, 0
	v_or_b32_e32 v49, 0x10000, v48
	v_cmp_eq_u32_sdwa s[0:1], v48, v47 src0_sel:WORD_0 src1_sel:DWORD
	v_cndmask_b32_e64 v47, v49, v48, s[0:1]
; %bb.162:
	s_or_b64 exec, exec, s[8:9]
	s_waitcnt vmcnt(10)
	v_lshlrev_b32_e32 v48, 16, v42
	v_mul_f32_e32 v49, v72, v48
	s_mov_b32 s0, 0x7f800000
	v_and_b32_e32 v48, 0x7f800000, v49
	v_cmp_ne_u32_e64 s[0:1], s0, v48
                                        ; implicit-def: $vgpr48
	s_and_saveexec_b64 s[8:9], s[0:1]
	s_xor_b64 s[0:1], exec, s[8:9]
; %bb.163:
	v_bfe_u32 v48, v49, 16, 1
	s_movk_i32 s7, 0x7fff
	v_add3_u32 v48, v49, v48, s7
                                        ; implicit-def: $vgpr49
; %bb.164:
	s_andn2_saveexec_b64 s[8:9], s[0:1]
; %bb.165:
	v_mov_b32_e32 v48, 0
	v_or_b32_e32 v52, 0x10000, v49
	v_cmp_eq_u32_sdwa s[0:1], v49, v48 src0_sel:WORD_0 src1_sel:DWORD
	v_cndmask_b32_e64 v48, v52, v49, s[0:1]
; %bb.166:
	s_or_b64 exec, exec, s[8:9]
	v_and_b32_e32 v42, 0xffff0000, v42
	v_mul_f32_e32 v49, v71, v42
	s_mov_b32 s0, 0x7f800000
	v_and_b32_e32 v42, 0x7f800000, v49
	v_cmp_ne_u32_e64 s[0:1], s0, v42
                                        ; implicit-def: $vgpr42
	s_and_saveexec_b64 s[8:9], s[0:1]
	s_xor_b64 s[0:1], exec, s[8:9]
; %bb.167:
	v_bfe_u32 v42, v49, 16, 1
	s_movk_i32 s7, 0x7fff
	v_add3_u32 v42, v49, v42, s7
                                        ; implicit-def: $vgpr49
; %bb.168:
	s_andn2_saveexec_b64 s[8:9], s[0:1]
; %bb.169:
	v_mov_b32_e32 v42, 0
	v_or_b32_e32 v52, 0x10000, v49
	v_cmp_eq_u32_sdwa s[0:1], v49, v42 src0_sel:WORD_0 src1_sel:DWORD
	v_cndmask_b32_e64 v42, v52, v49, s[0:1]
; %bb.170:
	s_or_b64 exec, exec, s[8:9]
	v_and_b32_e32 v49, 0xffff0000, v48
	v_lshlrev_b32_e32 v48, 16, v43
	v_fmac_f32_e32 v49, v48, v70
	s_mov_b32 s0, 0x7f800000
	v_and_b32_e32 v48, 0x7f800000, v49
	v_cmp_ne_u32_e64 s[0:1], s0, v48
                                        ; implicit-def: $vgpr48
	s_and_saveexec_b64 s[8:9], s[0:1]
	s_xor_b64 s[0:1], exec, s[8:9]
; %bb.171:
	v_bfe_u32 v48, v49, 16, 1
	s_movk_i32 s7, 0x7fff
	v_add3_u32 v48, v49, v48, s7
                                        ; implicit-def: $vgpr49
; %bb.172:
	s_andn2_saveexec_b64 s[8:9], s[0:1]
; %bb.173:
	v_mov_b32_e32 v48, 0
	v_or_b32_e32 v52, 0x10000, v49
	v_cmp_eq_u32_sdwa s[0:1], v49, v48 src0_sel:WORD_0 src1_sel:DWORD
	v_cndmask_b32_e64 v48, v52, v49, s[0:1]
; %bb.174:
	s_or_b64 exec, exec, s[8:9]
	v_and_b32_e32 v49, 0xffff0000, v42
	v_and_b32_e32 v42, 0xffff0000, v43
	v_fmac_f32_e32 v49, v42, v69
	s_mov_b32 s0, 0x7f800000
	v_and_b32_e32 v42, 0x7f800000, v49
	v_cmp_ne_u32_e64 s[0:1], s0, v42
                                        ; implicit-def: $vgpr42
	s_and_saveexec_b64 s[8:9], s[0:1]
	s_xor_b64 s[0:1], exec, s[8:9]
; %bb.175:
	v_bfe_u32 v42, v49, 16, 1
	s_movk_i32 s7, 0x7fff
	v_add3_u32 v42, v49, v42, s7
                                        ; implicit-def: $vgpr49
; %bb.176:
	s_andn2_saveexec_b64 s[8:9], s[0:1]
; %bb.177:
	v_mov_b32_e32 v42, 0
	v_or_b32_e32 v43, 0x10000, v49
	v_cmp_eq_u32_sdwa s[0:1], v49, v42 src0_sel:WORD_0 src1_sel:DWORD
	v_cndmask_b32_e64 v42, v43, v49, s[0:1]
; %bb.178:
	s_or_b64 exec, exec, s[8:9]
	v_and_b32_e32 v48, 0xffff0000, v48
	v_lshlrev_b32_e32 v43, 16, v44
	v_fmac_f32_e32 v48, v43, v68
	s_mov_b32 s0, 0x7f800000
	v_and_b32_e32 v43, 0x7f800000, v48
	v_cmp_ne_u32_e64 s[0:1], s0, v43
                                        ; implicit-def: $vgpr43
	s_and_saveexec_b64 s[8:9], s[0:1]
	s_xor_b64 s[0:1], exec, s[8:9]
; %bb.179:
	v_bfe_u32 v43, v48, 16, 1
	s_movk_i32 s7, 0x7fff
	v_add3_u32 v43, v48, v43, s7
                                        ; implicit-def: $vgpr48
; %bb.180:
	s_andn2_saveexec_b64 s[8:9], s[0:1]
; %bb.181:
	v_mov_b32_e32 v43, 0
	v_or_b32_e32 v49, 0x10000, v48
	v_cmp_eq_u32_sdwa s[0:1], v48, v43 src0_sel:WORD_0 src1_sel:DWORD
	v_cndmask_b32_e64 v43, v49, v48, s[0:1]
; %bb.182:
	s_or_b64 exec, exec, s[8:9]
	v_and_b32_e32 v42, 0xffff0000, v42
	v_and_b32_e32 v44, 0xffff0000, v44
	v_fmac_f32_e32 v42, v44, v67
	s_mov_b32 s0, 0x7f800000
	v_and_b32_e32 v44, 0x7f800000, v42
	v_cmp_ne_u32_e64 s[0:1], s0, v44
                                        ; implicit-def: $vgpr44
	s_and_saveexec_b64 s[8:9], s[0:1]
	s_xor_b64 s[0:1], exec, s[8:9]
; %bb.183:
	v_bfe_u32 v44, v42, 16, 1
	s_movk_i32 s7, 0x7fff
	v_add3_u32 v44, v42, v44, s7
                                        ; implicit-def: $vgpr42
; %bb.184:
	s_andn2_saveexec_b64 s[8:9], s[0:1]
; %bb.185:
	v_mov_b32_e32 v44, 0
	v_or_b32_e32 v48, 0x10000, v42
	v_cmp_eq_u32_sdwa s[0:1], v42, v44 src0_sel:WORD_0 src1_sel:DWORD
	v_cndmask_b32_e64 v44, v48, v42, s[0:1]
; %bb.186:
	s_or_b64 exec, exec, s[8:9]
	v_and_b32_e32 v43, 0xffff0000, v43
	v_lshlrev_b32_e32 v42, 16, v45
	v_fmac_f32_e32 v43, v42, v1
	s_mov_b32 s0, 0x7f800000
	v_and_b32_e32 v42, 0x7f800000, v43
	v_cmp_ne_u32_e64 s[0:1], s0, v42
                                        ; implicit-def: $vgpr42
	s_and_saveexec_b64 s[8:9], s[0:1]
	s_xor_b64 s[0:1], exec, s[8:9]
; %bb.187:
	v_bfe_u32 v42, v43, 16, 1
	s_movk_i32 s7, 0x7fff
	v_add3_u32 v42, v43, v42, s7
                                        ; implicit-def: $vgpr43
; %bb.188:
	s_andn2_saveexec_b64 s[8:9], s[0:1]
; %bb.189:
	v_mov_b32_e32 v42, 0
	v_or_b32_e32 v48, 0x10000, v43
	v_cmp_eq_u32_sdwa s[0:1], v43, v42 src0_sel:WORD_0 src1_sel:DWORD
	v_cndmask_b32_e64 v42, v48, v43, s[0:1]
; %bb.190:
	s_or_b64 exec, exec, s[8:9]
	v_and_b32_e32 v44, 0xffff0000, v44
	v_and_b32_e32 v43, 0xffff0000, v45
	v_fmac_f32_e32 v44, v43, v66
	s_mov_b32 s0, 0x7f800000
	v_and_b32_e32 v43, 0x7f800000, v44
	v_cmp_ne_u32_e64 s[0:1], s0, v43
                                        ; implicit-def: $vgpr43
	s_and_saveexec_b64 s[8:9], s[0:1]
	s_xor_b64 s[0:1], exec, s[8:9]
; %bb.191:
	v_bfe_u32 v43, v44, 16, 1
	s_movk_i32 s7, 0x7fff
	v_add3_u32 v43, v44, v43, s7
                                        ; implicit-def: $vgpr44
; %bb.192:
	s_andn2_saveexec_b64 s[8:9], s[0:1]
; %bb.193:
	v_mov_b32_e32 v43, 0
	v_or_b32_e32 v45, 0x10000, v44
	v_cmp_eq_u32_sdwa s[0:1], v44, v43 src0_sel:WORD_0 src1_sel:DWORD
	v_cndmask_b32_e64 v43, v45, v44, s[0:1]
; %bb.194:
	s_or_b64 exec, exec, s[8:9]
	s_waitcnt vmcnt(9)
	v_lshlrev_b32_e32 v44, 16, v38
	v_mul_f32_e32 v45, v72, v44
	s_mov_b32 s0, 0x7f800000
	v_and_b32_e32 v44, 0x7f800000, v45
	v_cmp_ne_u32_e64 s[0:1], s0, v44
                                        ; implicit-def: $vgpr44
	s_and_saveexec_b64 s[8:9], s[0:1]
	s_xor_b64 s[0:1], exec, s[8:9]
; %bb.195:
	v_bfe_u32 v44, v45, 16, 1
	s_movk_i32 s7, 0x7fff
	v_add3_u32 v44, v45, v44, s7
                                        ; implicit-def: $vgpr45
; %bb.196:
	s_andn2_saveexec_b64 s[8:9], s[0:1]
; %bb.197:
	v_mov_b32_e32 v44, 0
	v_or_b32_e32 v48, 0x10000, v45
	v_cmp_eq_u32_sdwa s[0:1], v45, v44 src0_sel:WORD_0 src1_sel:DWORD
	v_cndmask_b32_e64 v44, v48, v45, s[0:1]
; %bb.198:
	s_or_b64 exec, exec, s[8:9]
	v_and_b32_e32 v38, 0xffff0000, v38
	v_mul_f32_e32 v45, v71, v38
	s_mov_b32 s0, 0x7f800000
	v_and_b32_e32 v38, 0x7f800000, v45
	v_cmp_ne_u32_e64 s[0:1], s0, v38
                                        ; implicit-def: $vgpr38
	s_and_saveexec_b64 s[8:9], s[0:1]
	s_xor_b64 s[0:1], exec, s[8:9]
; %bb.199:
	v_bfe_u32 v38, v45, 16, 1
	s_movk_i32 s7, 0x7fff
	v_add3_u32 v38, v45, v38, s7
                                        ; implicit-def: $vgpr45
; %bb.200:
	s_andn2_saveexec_b64 s[8:9], s[0:1]
; %bb.201:
	v_mov_b32_e32 v38, 0
	v_or_b32_e32 v48, 0x10000, v45
	v_cmp_eq_u32_sdwa s[0:1], v45, v38 src0_sel:WORD_0 src1_sel:DWORD
	v_cndmask_b32_e64 v38, v48, v45, s[0:1]
; %bb.202:
	s_or_b64 exec, exec, s[8:9]
	v_and_b32_e32 v45, 0xffff0000, v44
	v_lshlrev_b32_e32 v44, 16, v39
	v_fmac_f32_e32 v45, v44, v70
	s_mov_b32 s0, 0x7f800000
	v_and_b32_e32 v44, 0x7f800000, v45
	v_cmp_ne_u32_e64 s[0:1], s0, v44
                                        ; implicit-def: $vgpr44
	s_and_saveexec_b64 s[8:9], s[0:1]
	s_xor_b64 s[0:1], exec, s[8:9]
; %bb.203:
	v_bfe_u32 v44, v45, 16, 1
	s_movk_i32 s7, 0x7fff
	v_add3_u32 v44, v45, v44, s7
                                        ; implicit-def: $vgpr45
; %bb.204:
	s_andn2_saveexec_b64 s[8:9], s[0:1]
; %bb.205:
	v_mov_b32_e32 v44, 0
	v_or_b32_e32 v48, 0x10000, v45
	v_cmp_eq_u32_sdwa s[0:1], v45, v44 src0_sel:WORD_0 src1_sel:DWORD
	v_cndmask_b32_e64 v44, v48, v45, s[0:1]
; %bb.206:
	s_or_b64 exec, exec, s[8:9]
	v_and_b32_e32 v45, 0xffff0000, v38
	v_and_b32_e32 v38, 0xffff0000, v39
	v_fmac_f32_e32 v45, v38, v69
	s_mov_b32 s0, 0x7f800000
	v_and_b32_e32 v38, 0x7f800000, v45
	v_cmp_ne_u32_e64 s[0:1], s0, v38
                                        ; implicit-def: $vgpr38
	s_and_saveexec_b64 s[8:9], s[0:1]
	s_xor_b64 s[0:1], exec, s[8:9]
; %bb.207:
	v_bfe_u32 v38, v45, 16, 1
	s_movk_i32 s7, 0x7fff
	v_add3_u32 v38, v45, v38, s7
                                        ; implicit-def: $vgpr45
; %bb.208:
	s_andn2_saveexec_b64 s[8:9], s[0:1]
; %bb.209:
	v_mov_b32_e32 v38, 0
	v_or_b32_e32 v39, 0x10000, v45
	v_cmp_eq_u32_sdwa s[0:1], v45, v38 src0_sel:WORD_0 src1_sel:DWORD
	v_cndmask_b32_e64 v38, v39, v45, s[0:1]
; %bb.210:
	s_or_b64 exec, exec, s[8:9]
	v_and_b32_e32 v44, 0xffff0000, v44
	v_lshlrev_b32_e32 v39, 16, v40
	v_fmac_f32_e32 v44, v39, v68
	s_mov_b32 s0, 0x7f800000
	v_and_b32_e32 v39, 0x7f800000, v44
	v_cmp_ne_u32_e64 s[0:1], s0, v39
                                        ; implicit-def: $vgpr39
	s_and_saveexec_b64 s[8:9], s[0:1]
	s_xor_b64 s[0:1], exec, s[8:9]
; %bb.211:
	v_bfe_u32 v39, v44, 16, 1
	s_movk_i32 s7, 0x7fff
	v_add3_u32 v39, v44, v39, s7
                                        ; implicit-def: $vgpr44
; %bb.212:
	s_andn2_saveexec_b64 s[8:9], s[0:1]
; %bb.213:
	v_mov_b32_e32 v39, 0
	v_or_b32_e32 v45, 0x10000, v44
	v_cmp_eq_u32_sdwa s[0:1], v44, v39 src0_sel:WORD_0 src1_sel:DWORD
	v_cndmask_b32_e64 v39, v45, v44, s[0:1]
; %bb.214:
	s_or_b64 exec, exec, s[8:9]
	v_and_b32_e32 v38, 0xffff0000, v38
	v_and_b32_e32 v40, 0xffff0000, v40
	v_fmac_f32_e32 v38, v40, v67
	s_mov_b32 s0, 0x7f800000
	v_and_b32_e32 v40, 0x7f800000, v38
	v_cmp_ne_u32_e64 s[0:1], s0, v40
                                        ; implicit-def: $vgpr40
	s_and_saveexec_b64 s[8:9], s[0:1]
	s_xor_b64 s[0:1], exec, s[8:9]
; %bb.215:
	v_bfe_u32 v40, v38, 16, 1
	s_movk_i32 s7, 0x7fff
	v_add3_u32 v40, v38, v40, s7
                                        ; implicit-def: $vgpr38
; %bb.216:
	s_andn2_saveexec_b64 s[8:9], s[0:1]
; %bb.217:
	v_mov_b32_e32 v40, 0
	v_or_b32_e32 v44, 0x10000, v38
	v_cmp_eq_u32_sdwa s[0:1], v38, v40 src0_sel:WORD_0 src1_sel:DWORD
	v_cndmask_b32_e64 v40, v44, v38, s[0:1]
; %bb.218:
	s_or_b64 exec, exec, s[8:9]
	v_and_b32_e32 v39, 0xffff0000, v39
	v_lshlrev_b32_e32 v38, 16, v41
	v_fmac_f32_e32 v39, v38, v1
	s_mov_b32 s0, 0x7f800000
	v_and_b32_e32 v38, 0x7f800000, v39
	v_cmp_ne_u32_e64 s[0:1], s0, v38
                                        ; implicit-def: $vgpr38
	s_and_saveexec_b64 s[8:9], s[0:1]
	s_xor_b64 s[0:1], exec, s[8:9]
; %bb.219:
	v_bfe_u32 v38, v39, 16, 1
	s_movk_i32 s7, 0x7fff
	v_add3_u32 v38, v39, v38, s7
                                        ; implicit-def: $vgpr39
; %bb.220:
	s_andn2_saveexec_b64 s[8:9], s[0:1]
; %bb.221:
	v_mov_b32_e32 v38, 0
	v_or_b32_e32 v44, 0x10000, v39
	v_cmp_eq_u32_sdwa s[0:1], v39, v38 src0_sel:WORD_0 src1_sel:DWORD
	v_cndmask_b32_e64 v38, v44, v39, s[0:1]
; %bb.222:
	s_or_b64 exec, exec, s[8:9]
	v_and_b32_e32 v40, 0xffff0000, v40
	v_and_b32_e32 v39, 0xffff0000, v41
	v_fmac_f32_e32 v40, v39, v66
	s_mov_b32 s0, 0x7f800000
	v_and_b32_e32 v39, 0x7f800000, v40
	v_cmp_ne_u32_e64 s[0:1], s0, v39
                                        ; implicit-def: $vgpr39
	s_and_saveexec_b64 s[8:9], s[0:1]
	s_xor_b64 s[0:1], exec, s[8:9]
; %bb.223:
	v_bfe_u32 v39, v40, 16, 1
	s_movk_i32 s7, 0x7fff
	v_add3_u32 v39, v40, v39, s7
                                        ; implicit-def: $vgpr40
; %bb.224:
	s_andn2_saveexec_b64 s[8:9], s[0:1]
; %bb.225:
	v_mov_b32_e32 v39, 0
	v_or_b32_e32 v41, 0x10000, v40
	v_cmp_eq_u32_sdwa s[0:1], v40, v39 src0_sel:WORD_0 src1_sel:DWORD
	v_cndmask_b32_e64 v39, v41, v40, s[0:1]
; %bb.226:
	s_or_b64 exec, exec, s[8:9]
	s_waitcnt vmcnt(8)
	v_lshlrev_b32_e32 v40, 16, v34
	v_mul_f32_e32 v41, v72, v40
	s_mov_b32 s0, 0x7f800000
	v_and_b32_e32 v40, 0x7f800000, v41
	v_cmp_ne_u32_e64 s[0:1], s0, v40
                                        ; implicit-def: $vgpr40
	s_and_saveexec_b64 s[8:9], s[0:1]
	s_xor_b64 s[0:1], exec, s[8:9]
; %bb.227:
	v_bfe_u32 v40, v41, 16, 1
	s_movk_i32 s7, 0x7fff
	v_add3_u32 v40, v41, v40, s7
                                        ; implicit-def: $vgpr41
; %bb.228:
	s_andn2_saveexec_b64 s[8:9], s[0:1]
; %bb.229:
	v_mov_b32_e32 v40, 0
	v_or_b32_e32 v44, 0x10000, v41
	v_cmp_eq_u32_sdwa s[0:1], v41, v40 src0_sel:WORD_0 src1_sel:DWORD
	v_cndmask_b32_e64 v40, v44, v41, s[0:1]
; %bb.230:
	s_or_b64 exec, exec, s[8:9]
	v_and_b32_e32 v34, 0xffff0000, v34
	v_mul_f32_e32 v41, v71, v34
	s_mov_b32 s0, 0x7f800000
	v_and_b32_e32 v34, 0x7f800000, v41
	v_cmp_ne_u32_e64 s[0:1], s0, v34
                                        ; implicit-def: $vgpr34
	s_and_saveexec_b64 s[8:9], s[0:1]
	s_xor_b64 s[0:1], exec, s[8:9]
; %bb.231:
	v_bfe_u32 v34, v41, 16, 1
	s_movk_i32 s7, 0x7fff
	v_add3_u32 v34, v41, v34, s7
                                        ; implicit-def: $vgpr41
; %bb.232:
	s_andn2_saveexec_b64 s[8:9], s[0:1]
; %bb.233:
	v_mov_b32_e32 v34, 0
	v_or_b32_e32 v44, 0x10000, v41
	v_cmp_eq_u32_sdwa s[0:1], v41, v34 src0_sel:WORD_0 src1_sel:DWORD
	v_cndmask_b32_e64 v34, v44, v41, s[0:1]
; %bb.234:
	s_or_b64 exec, exec, s[8:9]
	v_and_b32_e32 v41, 0xffff0000, v40
	v_lshlrev_b32_e32 v40, 16, v35
	v_fmac_f32_e32 v41, v40, v70
	s_mov_b32 s0, 0x7f800000
	v_and_b32_e32 v40, 0x7f800000, v41
	v_cmp_ne_u32_e64 s[0:1], s0, v40
                                        ; implicit-def: $vgpr40
	s_and_saveexec_b64 s[8:9], s[0:1]
	s_xor_b64 s[0:1], exec, s[8:9]
; %bb.235:
	v_bfe_u32 v40, v41, 16, 1
	s_movk_i32 s7, 0x7fff
	v_add3_u32 v40, v41, v40, s7
                                        ; implicit-def: $vgpr41
; %bb.236:
	s_andn2_saveexec_b64 s[8:9], s[0:1]
; %bb.237:
	v_mov_b32_e32 v40, 0
	v_or_b32_e32 v44, 0x10000, v41
	v_cmp_eq_u32_sdwa s[0:1], v41, v40 src0_sel:WORD_0 src1_sel:DWORD
	v_cndmask_b32_e64 v40, v44, v41, s[0:1]
; %bb.238:
	s_or_b64 exec, exec, s[8:9]
	v_and_b32_e32 v41, 0xffff0000, v34
	v_and_b32_e32 v34, 0xffff0000, v35
	v_fmac_f32_e32 v41, v34, v69
	s_mov_b32 s0, 0x7f800000
	v_and_b32_e32 v34, 0x7f800000, v41
	v_cmp_ne_u32_e64 s[0:1], s0, v34
                                        ; implicit-def: $vgpr34
	s_and_saveexec_b64 s[8:9], s[0:1]
	s_xor_b64 s[0:1], exec, s[8:9]
; %bb.239:
	v_bfe_u32 v34, v41, 16, 1
	s_movk_i32 s7, 0x7fff
	v_add3_u32 v34, v41, v34, s7
                                        ; implicit-def: $vgpr41
; %bb.240:
	s_andn2_saveexec_b64 s[8:9], s[0:1]
; %bb.241:
	v_mov_b32_e32 v34, 0
	v_or_b32_e32 v35, 0x10000, v41
	v_cmp_eq_u32_sdwa s[0:1], v41, v34 src0_sel:WORD_0 src1_sel:DWORD
	v_cndmask_b32_e64 v34, v35, v41, s[0:1]
; %bb.242:
	s_or_b64 exec, exec, s[8:9]
	v_and_b32_e32 v40, 0xffff0000, v40
	v_lshlrev_b32_e32 v35, 16, v36
	v_fmac_f32_e32 v40, v35, v68
	s_mov_b32 s0, 0x7f800000
	v_and_b32_e32 v35, 0x7f800000, v40
	v_cmp_ne_u32_e64 s[0:1], s0, v35
                                        ; implicit-def: $vgpr35
	s_and_saveexec_b64 s[8:9], s[0:1]
	s_xor_b64 s[0:1], exec, s[8:9]
; %bb.243:
	v_bfe_u32 v35, v40, 16, 1
	s_movk_i32 s7, 0x7fff
	v_add3_u32 v35, v40, v35, s7
                                        ; implicit-def: $vgpr40
; %bb.244:
	s_andn2_saveexec_b64 s[8:9], s[0:1]
; %bb.245:
	v_mov_b32_e32 v35, 0
	v_or_b32_e32 v41, 0x10000, v40
	v_cmp_eq_u32_sdwa s[0:1], v40, v35 src0_sel:WORD_0 src1_sel:DWORD
	v_cndmask_b32_e64 v35, v41, v40, s[0:1]
; %bb.246:
	s_or_b64 exec, exec, s[8:9]
	v_and_b32_e32 v34, 0xffff0000, v34
	v_and_b32_e32 v36, 0xffff0000, v36
	v_fmac_f32_e32 v34, v36, v67
	s_mov_b32 s0, 0x7f800000
	v_and_b32_e32 v36, 0x7f800000, v34
	v_cmp_ne_u32_e64 s[0:1], s0, v36
                                        ; implicit-def: $vgpr36
	s_and_saveexec_b64 s[8:9], s[0:1]
	s_xor_b64 s[0:1], exec, s[8:9]
; %bb.247:
	v_bfe_u32 v36, v34, 16, 1
	s_movk_i32 s7, 0x7fff
	v_add3_u32 v36, v34, v36, s7
                                        ; implicit-def: $vgpr34
; %bb.248:
	s_andn2_saveexec_b64 s[8:9], s[0:1]
; %bb.249:
	v_mov_b32_e32 v36, 0
	v_or_b32_e32 v40, 0x10000, v34
	v_cmp_eq_u32_sdwa s[0:1], v34, v36 src0_sel:WORD_0 src1_sel:DWORD
	v_cndmask_b32_e64 v36, v40, v34, s[0:1]
; %bb.250:
	s_or_b64 exec, exec, s[8:9]
	v_and_b32_e32 v35, 0xffff0000, v35
	v_lshlrev_b32_e32 v34, 16, v37
	v_fmac_f32_e32 v35, v34, v1
	s_mov_b32 s0, 0x7f800000
	v_and_b32_e32 v34, 0x7f800000, v35
	v_cmp_ne_u32_e64 s[0:1], s0, v34
                                        ; implicit-def: $vgpr34
	s_and_saveexec_b64 s[8:9], s[0:1]
	s_xor_b64 s[0:1], exec, s[8:9]
; %bb.251:
	v_bfe_u32 v34, v35, 16, 1
	s_movk_i32 s7, 0x7fff
	v_add3_u32 v34, v35, v34, s7
                                        ; implicit-def: $vgpr35
; %bb.252:
	s_andn2_saveexec_b64 s[8:9], s[0:1]
; %bb.253:
	v_mov_b32_e32 v34, 0
	v_or_b32_e32 v40, 0x10000, v35
	v_cmp_eq_u32_sdwa s[0:1], v35, v34 src0_sel:WORD_0 src1_sel:DWORD
	v_cndmask_b32_e64 v34, v40, v35, s[0:1]
; %bb.254:
	s_or_b64 exec, exec, s[8:9]
	v_and_b32_e32 v36, 0xffff0000, v36
	v_and_b32_e32 v35, 0xffff0000, v37
	v_fmac_f32_e32 v36, v35, v66
	s_mov_b32 s0, 0x7f800000
	v_and_b32_e32 v35, 0x7f800000, v36
	v_cmp_ne_u32_e64 s[0:1], s0, v35
                                        ; implicit-def: $vgpr35
	s_and_saveexec_b64 s[8:9], s[0:1]
	s_xor_b64 s[0:1], exec, s[8:9]
; %bb.255:
	v_bfe_u32 v35, v36, 16, 1
	s_movk_i32 s7, 0x7fff
	v_add3_u32 v35, v36, v35, s7
                                        ; implicit-def: $vgpr36
; %bb.256:
	s_andn2_saveexec_b64 s[8:9], s[0:1]
; %bb.257:
	v_mov_b32_e32 v35, 0
	v_or_b32_e32 v37, 0x10000, v36
	v_cmp_eq_u32_sdwa s[0:1], v36, v35 src0_sel:WORD_0 src1_sel:DWORD
	v_cndmask_b32_e64 v35, v37, v36, s[0:1]
; %bb.258:
	s_or_b64 exec, exec, s[8:9]
	s_waitcnt vmcnt(7)
	v_lshlrev_b32_e32 v36, 16, v30
	v_mul_f32_e32 v37, v72, v36
	s_mov_b32 s0, 0x7f800000
	v_and_b32_e32 v36, 0x7f800000, v37
	v_cmp_ne_u32_e64 s[0:1], s0, v36
                                        ; implicit-def: $vgpr36
	s_and_saveexec_b64 s[8:9], s[0:1]
	s_xor_b64 s[0:1], exec, s[8:9]
; %bb.259:
	v_bfe_u32 v36, v37, 16, 1
	s_movk_i32 s7, 0x7fff
	v_add3_u32 v36, v37, v36, s7
                                        ; implicit-def: $vgpr37
; %bb.260:
	s_andn2_saveexec_b64 s[8:9], s[0:1]
; %bb.261:
	v_mov_b32_e32 v36, 0
	v_or_b32_e32 v40, 0x10000, v37
	v_cmp_eq_u32_sdwa s[0:1], v37, v36 src0_sel:WORD_0 src1_sel:DWORD
	v_cndmask_b32_e64 v36, v40, v37, s[0:1]
; %bb.262:
	s_or_b64 exec, exec, s[8:9]
	v_and_b32_e32 v30, 0xffff0000, v30
	v_mul_f32_e32 v37, v71, v30
	s_mov_b32 s0, 0x7f800000
	v_and_b32_e32 v30, 0x7f800000, v37
	v_cmp_ne_u32_e64 s[0:1], s0, v30
                                        ; implicit-def: $vgpr30
	s_and_saveexec_b64 s[8:9], s[0:1]
	s_xor_b64 s[0:1], exec, s[8:9]
; %bb.263:
	v_bfe_u32 v30, v37, 16, 1
	s_movk_i32 s7, 0x7fff
	v_add3_u32 v30, v37, v30, s7
                                        ; implicit-def: $vgpr37
; %bb.264:
	s_andn2_saveexec_b64 s[8:9], s[0:1]
; %bb.265:
	v_mov_b32_e32 v30, 0
	v_or_b32_e32 v40, 0x10000, v37
	v_cmp_eq_u32_sdwa s[0:1], v37, v30 src0_sel:WORD_0 src1_sel:DWORD
	v_cndmask_b32_e64 v30, v40, v37, s[0:1]
; %bb.266:
	s_or_b64 exec, exec, s[8:9]
	v_and_b32_e32 v37, 0xffff0000, v36
	v_lshlrev_b32_e32 v36, 16, v31
	v_fmac_f32_e32 v37, v36, v70
	s_mov_b32 s0, 0x7f800000
	v_and_b32_e32 v36, 0x7f800000, v37
	v_cmp_ne_u32_e64 s[0:1], s0, v36
                                        ; implicit-def: $vgpr36
	s_and_saveexec_b64 s[8:9], s[0:1]
	s_xor_b64 s[0:1], exec, s[8:9]
; %bb.267:
	v_bfe_u32 v36, v37, 16, 1
	s_movk_i32 s7, 0x7fff
	v_add3_u32 v36, v37, v36, s7
                                        ; implicit-def: $vgpr37
; %bb.268:
	s_andn2_saveexec_b64 s[8:9], s[0:1]
; %bb.269:
	v_mov_b32_e32 v36, 0
	v_or_b32_e32 v40, 0x10000, v37
	v_cmp_eq_u32_sdwa s[0:1], v37, v36 src0_sel:WORD_0 src1_sel:DWORD
	v_cndmask_b32_e64 v36, v40, v37, s[0:1]
; %bb.270:
	s_or_b64 exec, exec, s[8:9]
	v_and_b32_e32 v37, 0xffff0000, v30
	v_and_b32_e32 v30, 0xffff0000, v31
	v_fmac_f32_e32 v37, v30, v69
	s_mov_b32 s0, 0x7f800000
	v_and_b32_e32 v30, 0x7f800000, v37
	v_cmp_ne_u32_e64 s[0:1], s0, v30
                                        ; implicit-def: $vgpr30
	s_and_saveexec_b64 s[8:9], s[0:1]
	s_xor_b64 s[0:1], exec, s[8:9]
; %bb.271:
	v_bfe_u32 v30, v37, 16, 1
	s_movk_i32 s7, 0x7fff
	v_add3_u32 v30, v37, v30, s7
                                        ; implicit-def: $vgpr37
; %bb.272:
	s_andn2_saveexec_b64 s[8:9], s[0:1]
; %bb.273:
	v_mov_b32_e32 v30, 0
	v_or_b32_e32 v31, 0x10000, v37
	v_cmp_eq_u32_sdwa s[0:1], v37, v30 src0_sel:WORD_0 src1_sel:DWORD
	v_cndmask_b32_e64 v30, v31, v37, s[0:1]
; %bb.274:
	s_or_b64 exec, exec, s[8:9]
	v_and_b32_e32 v36, 0xffff0000, v36
	v_lshlrev_b32_e32 v31, 16, v32
	v_fmac_f32_e32 v36, v31, v68
	s_mov_b32 s0, 0x7f800000
	v_and_b32_e32 v31, 0x7f800000, v36
	v_cmp_ne_u32_e64 s[0:1], s0, v31
                                        ; implicit-def: $vgpr31
	s_and_saveexec_b64 s[8:9], s[0:1]
	s_xor_b64 s[0:1], exec, s[8:9]
; %bb.275:
	v_bfe_u32 v31, v36, 16, 1
	s_movk_i32 s7, 0x7fff
	v_add3_u32 v31, v36, v31, s7
                                        ; implicit-def: $vgpr36
; %bb.276:
	s_andn2_saveexec_b64 s[8:9], s[0:1]
; %bb.277:
	v_mov_b32_e32 v31, 0
	v_or_b32_e32 v37, 0x10000, v36
	v_cmp_eq_u32_sdwa s[0:1], v36, v31 src0_sel:WORD_0 src1_sel:DWORD
	v_cndmask_b32_e64 v31, v37, v36, s[0:1]
; %bb.278:
	s_or_b64 exec, exec, s[8:9]
	v_and_b32_e32 v30, 0xffff0000, v30
	v_and_b32_e32 v32, 0xffff0000, v32
	v_fmac_f32_e32 v30, v32, v67
	s_mov_b32 s0, 0x7f800000
	v_and_b32_e32 v32, 0x7f800000, v30
	v_cmp_ne_u32_e64 s[0:1], s0, v32
                                        ; implicit-def: $vgpr32
	s_and_saveexec_b64 s[8:9], s[0:1]
	s_xor_b64 s[0:1], exec, s[8:9]
; %bb.279:
	v_bfe_u32 v32, v30, 16, 1
	s_movk_i32 s7, 0x7fff
	v_add3_u32 v32, v30, v32, s7
                                        ; implicit-def: $vgpr30
; %bb.280:
	s_andn2_saveexec_b64 s[8:9], s[0:1]
; %bb.281:
	v_mov_b32_e32 v32, 0
	v_or_b32_e32 v36, 0x10000, v30
	v_cmp_eq_u32_sdwa s[0:1], v30, v32 src0_sel:WORD_0 src1_sel:DWORD
	v_cndmask_b32_e64 v32, v36, v30, s[0:1]
; %bb.282:
	s_or_b64 exec, exec, s[8:9]
	v_and_b32_e32 v31, 0xffff0000, v31
	v_lshlrev_b32_e32 v30, 16, v33
	v_fmac_f32_e32 v31, v30, v1
	s_mov_b32 s0, 0x7f800000
	v_and_b32_e32 v30, 0x7f800000, v31
	v_cmp_ne_u32_e64 s[0:1], s0, v30
                                        ; implicit-def: $vgpr30
	s_and_saveexec_b64 s[8:9], s[0:1]
	s_xor_b64 s[0:1], exec, s[8:9]
; %bb.283:
	v_bfe_u32 v30, v31, 16, 1
	s_movk_i32 s7, 0x7fff
	v_add3_u32 v30, v31, v30, s7
                                        ; implicit-def: $vgpr31
; %bb.284:
	s_andn2_saveexec_b64 s[8:9], s[0:1]
; %bb.285:
	v_mov_b32_e32 v30, 0
	v_or_b32_e32 v36, 0x10000, v31
	v_cmp_eq_u32_sdwa s[0:1], v31, v30 src0_sel:WORD_0 src1_sel:DWORD
	v_cndmask_b32_e64 v30, v36, v31, s[0:1]
; %bb.286:
	s_or_b64 exec, exec, s[8:9]
	v_and_b32_e32 v32, 0xffff0000, v32
	v_and_b32_e32 v31, 0xffff0000, v33
	v_fmac_f32_e32 v32, v31, v66
	s_mov_b32 s0, 0x7f800000
	v_and_b32_e32 v31, 0x7f800000, v32
	v_cmp_ne_u32_e64 s[0:1], s0, v31
                                        ; implicit-def: $vgpr31
	s_and_saveexec_b64 s[8:9], s[0:1]
	s_xor_b64 s[0:1], exec, s[8:9]
; %bb.287:
	v_bfe_u32 v31, v32, 16, 1
	s_movk_i32 s7, 0x7fff
	v_add3_u32 v31, v32, v31, s7
                                        ; implicit-def: $vgpr32
; %bb.288:
	s_andn2_saveexec_b64 s[8:9], s[0:1]
; %bb.289:
	v_mov_b32_e32 v31, 0
	v_or_b32_e32 v33, 0x10000, v32
	v_cmp_eq_u32_sdwa s[0:1], v32, v31 src0_sel:WORD_0 src1_sel:DWORD
	v_cndmask_b32_e64 v31, v33, v32, s[0:1]
; %bb.290:
	s_or_b64 exec, exec, s[8:9]
	s_waitcnt vmcnt(6)
	v_lshlrev_b32_e32 v32, 16, v26
	v_mul_f32_e32 v33, v72, v32
	s_mov_b32 s0, 0x7f800000
	v_and_b32_e32 v32, 0x7f800000, v33
	v_cmp_ne_u32_e64 s[0:1], s0, v32
                                        ; implicit-def: $vgpr32
	s_and_saveexec_b64 s[8:9], s[0:1]
	s_xor_b64 s[0:1], exec, s[8:9]
; %bb.291:
	v_bfe_u32 v32, v33, 16, 1
	s_movk_i32 s7, 0x7fff
	v_add3_u32 v32, v33, v32, s7
                                        ; implicit-def: $vgpr33
; %bb.292:
	s_andn2_saveexec_b64 s[8:9], s[0:1]
; %bb.293:
	v_mov_b32_e32 v32, 0
	v_or_b32_e32 v36, 0x10000, v33
	v_cmp_eq_u32_sdwa s[0:1], v33, v32 src0_sel:WORD_0 src1_sel:DWORD
	v_cndmask_b32_e64 v32, v36, v33, s[0:1]
; %bb.294:
	s_or_b64 exec, exec, s[8:9]
	v_and_b32_e32 v26, 0xffff0000, v26
	v_mul_f32_e32 v33, v71, v26
	s_mov_b32 s0, 0x7f800000
	v_and_b32_e32 v26, 0x7f800000, v33
	v_cmp_ne_u32_e64 s[0:1], s0, v26
                                        ; implicit-def: $vgpr26
	s_and_saveexec_b64 s[8:9], s[0:1]
	s_xor_b64 s[0:1], exec, s[8:9]
; %bb.295:
	v_bfe_u32 v26, v33, 16, 1
	s_movk_i32 s7, 0x7fff
	v_add3_u32 v26, v33, v26, s7
                                        ; implicit-def: $vgpr33
; %bb.296:
	s_andn2_saveexec_b64 s[8:9], s[0:1]
; %bb.297:
	v_mov_b32_e32 v26, 0
	v_or_b32_e32 v36, 0x10000, v33
	v_cmp_eq_u32_sdwa s[0:1], v33, v26 src0_sel:WORD_0 src1_sel:DWORD
	v_cndmask_b32_e64 v26, v36, v33, s[0:1]
; %bb.298:
	s_or_b64 exec, exec, s[8:9]
	v_and_b32_e32 v33, 0xffff0000, v32
	v_lshlrev_b32_e32 v32, 16, v27
	v_fmac_f32_e32 v33, v32, v70
	s_mov_b32 s0, 0x7f800000
	v_and_b32_e32 v32, 0x7f800000, v33
	v_cmp_ne_u32_e64 s[0:1], s0, v32
                                        ; implicit-def: $vgpr32
	s_and_saveexec_b64 s[8:9], s[0:1]
	s_xor_b64 s[0:1], exec, s[8:9]
; %bb.299:
	v_bfe_u32 v32, v33, 16, 1
	s_movk_i32 s7, 0x7fff
	v_add3_u32 v32, v33, v32, s7
                                        ; implicit-def: $vgpr33
; %bb.300:
	s_andn2_saveexec_b64 s[8:9], s[0:1]
; %bb.301:
	v_mov_b32_e32 v32, 0
	v_or_b32_e32 v36, 0x10000, v33
	v_cmp_eq_u32_sdwa s[0:1], v33, v32 src0_sel:WORD_0 src1_sel:DWORD
	v_cndmask_b32_e64 v32, v36, v33, s[0:1]
; %bb.302:
	s_or_b64 exec, exec, s[8:9]
	v_and_b32_e32 v33, 0xffff0000, v26
	v_and_b32_e32 v26, 0xffff0000, v27
	v_fmac_f32_e32 v33, v26, v69
	s_mov_b32 s0, 0x7f800000
	v_and_b32_e32 v26, 0x7f800000, v33
	v_cmp_ne_u32_e64 s[0:1], s0, v26
                                        ; implicit-def: $vgpr26
	s_and_saveexec_b64 s[8:9], s[0:1]
	s_xor_b64 s[0:1], exec, s[8:9]
; %bb.303:
	v_bfe_u32 v26, v33, 16, 1
	s_movk_i32 s7, 0x7fff
	v_add3_u32 v26, v33, v26, s7
                                        ; implicit-def: $vgpr33
; %bb.304:
	s_andn2_saveexec_b64 s[8:9], s[0:1]
; %bb.305:
	v_mov_b32_e32 v26, 0
	v_or_b32_e32 v27, 0x10000, v33
	v_cmp_eq_u32_sdwa s[0:1], v33, v26 src0_sel:WORD_0 src1_sel:DWORD
	v_cndmask_b32_e64 v26, v27, v33, s[0:1]
; %bb.306:
	s_or_b64 exec, exec, s[8:9]
	v_and_b32_e32 v32, 0xffff0000, v32
	v_lshlrev_b32_e32 v27, 16, v28
	v_fmac_f32_e32 v32, v27, v68
	s_mov_b32 s0, 0x7f800000
	v_and_b32_e32 v27, 0x7f800000, v32
	v_cmp_ne_u32_e64 s[0:1], s0, v27
                                        ; implicit-def: $vgpr27
	s_and_saveexec_b64 s[8:9], s[0:1]
	s_xor_b64 s[0:1], exec, s[8:9]
; %bb.307:
	v_bfe_u32 v27, v32, 16, 1
	s_movk_i32 s7, 0x7fff
	v_add3_u32 v27, v32, v27, s7
                                        ; implicit-def: $vgpr32
; %bb.308:
	s_andn2_saveexec_b64 s[8:9], s[0:1]
; %bb.309:
	v_mov_b32_e32 v27, 0
	v_or_b32_e32 v33, 0x10000, v32
	v_cmp_eq_u32_sdwa s[0:1], v32, v27 src0_sel:WORD_0 src1_sel:DWORD
	v_cndmask_b32_e64 v27, v33, v32, s[0:1]
; %bb.310:
	s_or_b64 exec, exec, s[8:9]
	v_and_b32_e32 v26, 0xffff0000, v26
	v_and_b32_e32 v28, 0xffff0000, v28
	v_fmac_f32_e32 v26, v28, v67
	s_mov_b32 s0, 0x7f800000
	v_and_b32_e32 v28, 0x7f800000, v26
	v_cmp_ne_u32_e64 s[0:1], s0, v28
                                        ; implicit-def: $vgpr28
	s_and_saveexec_b64 s[8:9], s[0:1]
	s_xor_b64 s[0:1], exec, s[8:9]
; %bb.311:
	v_bfe_u32 v28, v26, 16, 1
	s_movk_i32 s7, 0x7fff
	v_add3_u32 v28, v26, v28, s7
                                        ; implicit-def: $vgpr26
; %bb.312:
	s_andn2_saveexec_b64 s[8:9], s[0:1]
; %bb.313:
	v_mov_b32_e32 v28, 0
	v_or_b32_e32 v32, 0x10000, v26
	v_cmp_eq_u32_sdwa s[0:1], v26, v28 src0_sel:WORD_0 src1_sel:DWORD
	v_cndmask_b32_e64 v28, v32, v26, s[0:1]
; %bb.314:
	s_or_b64 exec, exec, s[8:9]
	v_and_b32_e32 v27, 0xffff0000, v27
	v_lshlrev_b32_e32 v26, 16, v29
	v_fmac_f32_e32 v27, v26, v1
	s_mov_b32 s0, 0x7f800000
	v_and_b32_e32 v26, 0x7f800000, v27
	v_cmp_ne_u32_e64 s[0:1], s0, v26
                                        ; implicit-def: $vgpr26
	s_and_saveexec_b64 s[8:9], s[0:1]
	s_xor_b64 s[0:1], exec, s[8:9]
; %bb.315:
	v_bfe_u32 v26, v27, 16, 1
	s_movk_i32 s7, 0x7fff
	v_add3_u32 v26, v27, v26, s7
                                        ; implicit-def: $vgpr27
; %bb.316:
	s_andn2_saveexec_b64 s[8:9], s[0:1]
; %bb.317:
	v_mov_b32_e32 v26, 0
	v_or_b32_e32 v32, 0x10000, v27
	v_cmp_eq_u32_sdwa s[0:1], v27, v26 src0_sel:WORD_0 src1_sel:DWORD
	v_cndmask_b32_e64 v26, v32, v27, s[0:1]
; %bb.318:
	s_or_b64 exec, exec, s[8:9]
	v_and_b32_e32 v28, 0xffff0000, v28
	v_and_b32_e32 v27, 0xffff0000, v29
	v_fmac_f32_e32 v28, v27, v66
	s_mov_b32 s0, 0x7f800000
	v_and_b32_e32 v27, 0x7f800000, v28
	v_cmp_ne_u32_e64 s[0:1], s0, v27
                                        ; implicit-def: $vgpr27
	s_and_saveexec_b64 s[8:9], s[0:1]
	s_xor_b64 s[0:1], exec, s[8:9]
; %bb.319:
	v_bfe_u32 v27, v28, 16, 1
	s_movk_i32 s7, 0x7fff
	v_add3_u32 v27, v28, v27, s7
                                        ; implicit-def: $vgpr28
; %bb.320:
	s_andn2_saveexec_b64 s[8:9], s[0:1]
; %bb.321:
	v_mov_b32_e32 v27, 0
	v_or_b32_e32 v29, 0x10000, v28
	v_cmp_eq_u32_sdwa s[0:1], v28, v27 src0_sel:WORD_0 src1_sel:DWORD
	v_cndmask_b32_e64 v27, v29, v28, s[0:1]
; %bb.322:
	s_or_b64 exec, exec, s[8:9]
	s_waitcnt vmcnt(5)
	v_lshlrev_b32_e32 v28, 16, v22
	v_mul_f32_e32 v29, v72, v28
	s_mov_b32 s0, 0x7f800000
	v_and_b32_e32 v28, 0x7f800000, v29
	v_cmp_ne_u32_e64 s[0:1], s0, v28
                                        ; implicit-def: $vgpr28
	s_and_saveexec_b64 s[8:9], s[0:1]
	s_xor_b64 s[0:1], exec, s[8:9]
; %bb.323:
	v_bfe_u32 v28, v29, 16, 1
	s_movk_i32 s7, 0x7fff
	v_add3_u32 v28, v29, v28, s7
                                        ; implicit-def: $vgpr29
; %bb.324:
	s_andn2_saveexec_b64 s[8:9], s[0:1]
; %bb.325:
	v_mov_b32_e32 v28, 0
	v_or_b32_e32 v32, 0x10000, v29
	v_cmp_eq_u32_sdwa s[0:1], v29, v28 src0_sel:WORD_0 src1_sel:DWORD
	v_cndmask_b32_e64 v28, v32, v29, s[0:1]
; %bb.326:
	s_or_b64 exec, exec, s[8:9]
	v_and_b32_e32 v22, 0xffff0000, v22
	v_mul_f32_e32 v29, v71, v22
	s_mov_b32 s0, 0x7f800000
	v_and_b32_e32 v22, 0x7f800000, v29
	v_cmp_ne_u32_e64 s[0:1], s0, v22
                                        ; implicit-def: $vgpr22
	s_and_saveexec_b64 s[8:9], s[0:1]
	s_xor_b64 s[0:1], exec, s[8:9]
; %bb.327:
	v_bfe_u32 v22, v29, 16, 1
	s_movk_i32 s7, 0x7fff
	v_add3_u32 v22, v29, v22, s7
                                        ; implicit-def: $vgpr29
; %bb.328:
	s_andn2_saveexec_b64 s[8:9], s[0:1]
; %bb.329:
	v_mov_b32_e32 v22, 0
	v_or_b32_e32 v32, 0x10000, v29
	v_cmp_eq_u32_sdwa s[0:1], v29, v22 src0_sel:WORD_0 src1_sel:DWORD
	v_cndmask_b32_e64 v22, v32, v29, s[0:1]
; %bb.330:
	s_or_b64 exec, exec, s[8:9]
	v_and_b32_e32 v29, 0xffff0000, v28
	v_lshlrev_b32_e32 v28, 16, v23
	v_fmac_f32_e32 v29, v28, v70
	s_mov_b32 s0, 0x7f800000
	v_and_b32_e32 v28, 0x7f800000, v29
	v_cmp_ne_u32_e64 s[0:1], s0, v28
                                        ; implicit-def: $vgpr28
	s_and_saveexec_b64 s[8:9], s[0:1]
	s_xor_b64 s[0:1], exec, s[8:9]
; %bb.331:
	v_bfe_u32 v28, v29, 16, 1
	s_movk_i32 s7, 0x7fff
	v_add3_u32 v28, v29, v28, s7
                                        ; implicit-def: $vgpr29
; %bb.332:
	s_andn2_saveexec_b64 s[8:9], s[0:1]
; %bb.333:
	v_mov_b32_e32 v28, 0
	v_or_b32_e32 v32, 0x10000, v29
	v_cmp_eq_u32_sdwa s[0:1], v29, v28 src0_sel:WORD_0 src1_sel:DWORD
	v_cndmask_b32_e64 v28, v32, v29, s[0:1]
; %bb.334:
	s_or_b64 exec, exec, s[8:9]
	v_and_b32_e32 v29, 0xffff0000, v22
	v_and_b32_e32 v22, 0xffff0000, v23
	v_fmac_f32_e32 v29, v22, v69
	s_mov_b32 s0, 0x7f800000
	v_and_b32_e32 v22, 0x7f800000, v29
	v_cmp_ne_u32_e64 s[0:1], s0, v22
                                        ; implicit-def: $vgpr22
	s_and_saveexec_b64 s[8:9], s[0:1]
	s_xor_b64 s[0:1], exec, s[8:9]
; %bb.335:
	v_bfe_u32 v22, v29, 16, 1
	s_movk_i32 s7, 0x7fff
	v_add3_u32 v22, v29, v22, s7
                                        ; implicit-def: $vgpr29
; %bb.336:
	s_andn2_saveexec_b64 s[8:9], s[0:1]
; %bb.337:
	v_mov_b32_e32 v22, 0
	v_or_b32_e32 v23, 0x10000, v29
	v_cmp_eq_u32_sdwa s[0:1], v29, v22 src0_sel:WORD_0 src1_sel:DWORD
	v_cndmask_b32_e64 v22, v23, v29, s[0:1]
; %bb.338:
	s_or_b64 exec, exec, s[8:9]
	v_and_b32_e32 v28, 0xffff0000, v28
	v_lshlrev_b32_e32 v23, 16, v24
	v_fmac_f32_e32 v28, v23, v68
	s_mov_b32 s0, 0x7f800000
	v_and_b32_e32 v23, 0x7f800000, v28
	v_cmp_ne_u32_e64 s[0:1], s0, v23
                                        ; implicit-def: $vgpr23
	s_and_saveexec_b64 s[8:9], s[0:1]
	s_xor_b64 s[0:1], exec, s[8:9]
; %bb.339:
	v_bfe_u32 v23, v28, 16, 1
	s_movk_i32 s7, 0x7fff
	v_add3_u32 v23, v28, v23, s7
                                        ; implicit-def: $vgpr28
; %bb.340:
	s_andn2_saveexec_b64 s[8:9], s[0:1]
; %bb.341:
	v_mov_b32_e32 v23, 0
	v_or_b32_e32 v29, 0x10000, v28
	v_cmp_eq_u32_sdwa s[0:1], v28, v23 src0_sel:WORD_0 src1_sel:DWORD
	v_cndmask_b32_e64 v23, v29, v28, s[0:1]
; %bb.342:
	s_or_b64 exec, exec, s[8:9]
	v_and_b32_e32 v22, 0xffff0000, v22
	v_and_b32_e32 v24, 0xffff0000, v24
	v_fmac_f32_e32 v22, v24, v67
	s_mov_b32 s0, 0x7f800000
	v_and_b32_e32 v24, 0x7f800000, v22
	v_cmp_ne_u32_e64 s[0:1], s0, v24
                                        ; implicit-def: $vgpr24
	s_and_saveexec_b64 s[8:9], s[0:1]
	s_xor_b64 s[0:1], exec, s[8:9]
; %bb.343:
	v_bfe_u32 v24, v22, 16, 1
	s_movk_i32 s7, 0x7fff
	v_add3_u32 v24, v22, v24, s7
                                        ; implicit-def: $vgpr22
; %bb.344:
	s_andn2_saveexec_b64 s[8:9], s[0:1]
; %bb.345:
	v_mov_b32_e32 v24, 0
	v_or_b32_e32 v28, 0x10000, v22
	v_cmp_eq_u32_sdwa s[0:1], v22, v24 src0_sel:WORD_0 src1_sel:DWORD
	v_cndmask_b32_e64 v24, v28, v22, s[0:1]
; %bb.346:
	s_or_b64 exec, exec, s[8:9]
	v_and_b32_e32 v23, 0xffff0000, v23
	v_lshlrev_b32_e32 v22, 16, v25
	v_fmac_f32_e32 v23, v22, v1
	s_mov_b32 s0, 0x7f800000
	v_and_b32_e32 v22, 0x7f800000, v23
	v_cmp_ne_u32_e64 s[0:1], s0, v22
                                        ; implicit-def: $vgpr22
	s_and_saveexec_b64 s[8:9], s[0:1]
	s_xor_b64 s[0:1], exec, s[8:9]
; %bb.347:
	v_bfe_u32 v22, v23, 16, 1
	s_movk_i32 s7, 0x7fff
	v_add3_u32 v22, v23, v22, s7
                                        ; implicit-def: $vgpr23
; %bb.348:
	s_andn2_saveexec_b64 s[8:9], s[0:1]
; %bb.349:
	v_mov_b32_e32 v22, 0
	v_or_b32_e32 v28, 0x10000, v23
	v_cmp_eq_u32_sdwa s[0:1], v23, v22 src0_sel:WORD_0 src1_sel:DWORD
	v_cndmask_b32_e64 v22, v28, v23, s[0:1]
; %bb.350:
	s_or_b64 exec, exec, s[8:9]
	v_and_b32_e32 v24, 0xffff0000, v24
	v_and_b32_e32 v23, 0xffff0000, v25
	v_fmac_f32_e32 v24, v23, v66
	s_mov_b32 s0, 0x7f800000
	v_and_b32_e32 v23, 0x7f800000, v24
	v_cmp_ne_u32_e64 s[0:1], s0, v23
                                        ; implicit-def: $vgpr23
	s_and_saveexec_b64 s[8:9], s[0:1]
	s_xor_b64 s[0:1], exec, s[8:9]
; %bb.351:
	v_bfe_u32 v23, v24, 16, 1
	s_movk_i32 s7, 0x7fff
	v_add3_u32 v23, v24, v23, s7
                                        ; implicit-def: $vgpr24
; %bb.352:
	s_andn2_saveexec_b64 s[8:9], s[0:1]
; %bb.353:
	v_mov_b32_e32 v23, 0
	v_or_b32_e32 v25, 0x10000, v24
	v_cmp_eq_u32_sdwa s[0:1], v24, v23 src0_sel:WORD_0 src1_sel:DWORD
	v_cndmask_b32_e64 v23, v25, v24, s[0:1]
; %bb.354:
	s_or_b64 exec, exec, s[8:9]
	s_waitcnt vmcnt(4)
	v_lshlrev_b32_e32 v24, 16, v18
	v_mul_f32_e32 v25, v72, v24
	s_mov_b32 s0, 0x7f800000
	v_and_b32_e32 v24, 0x7f800000, v25
	v_cmp_ne_u32_e64 s[0:1], s0, v24
                                        ; implicit-def: $vgpr24
	s_and_saveexec_b64 s[8:9], s[0:1]
	s_xor_b64 s[0:1], exec, s[8:9]
; %bb.355:
	v_bfe_u32 v24, v25, 16, 1
	s_movk_i32 s7, 0x7fff
	v_add3_u32 v24, v25, v24, s7
                                        ; implicit-def: $vgpr25
; %bb.356:
	s_andn2_saveexec_b64 s[8:9], s[0:1]
; %bb.357:
	v_mov_b32_e32 v24, 0
	v_or_b32_e32 v28, 0x10000, v25
	v_cmp_eq_u32_sdwa s[0:1], v25, v24 src0_sel:WORD_0 src1_sel:DWORD
	v_cndmask_b32_e64 v24, v28, v25, s[0:1]
; %bb.358:
	s_or_b64 exec, exec, s[8:9]
	v_and_b32_e32 v18, 0xffff0000, v18
	v_mul_f32_e32 v25, v71, v18
	s_mov_b32 s0, 0x7f800000
	v_and_b32_e32 v18, 0x7f800000, v25
	v_cmp_ne_u32_e64 s[0:1], s0, v18
                                        ; implicit-def: $vgpr18
	s_and_saveexec_b64 s[8:9], s[0:1]
	s_xor_b64 s[0:1], exec, s[8:9]
; %bb.359:
	v_bfe_u32 v18, v25, 16, 1
	s_movk_i32 s7, 0x7fff
	v_add3_u32 v18, v25, v18, s7
                                        ; implicit-def: $vgpr25
; %bb.360:
	s_andn2_saveexec_b64 s[8:9], s[0:1]
; %bb.361:
	v_mov_b32_e32 v18, 0
	v_or_b32_e32 v28, 0x10000, v25
	v_cmp_eq_u32_sdwa s[0:1], v25, v18 src0_sel:WORD_0 src1_sel:DWORD
	v_cndmask_b32_e64 v18, v28, v25, s[0:1]
; %bb.362:
	s_or_b64 exec, exec, s[8:9]
	v_and_b32_e32 v25, 0xffff0000, v24
	v_lshlrev_b32_e32 v24, 16, v19
	v_fmac_f32_e32 v25, v24, v70
	s_mov_b32 s0, 0x7f800000
	v_and_b32_e32 v24, 0x7f800000, v25
	v_cmp_ne_u32_e64 s[0:1], s0, v24
                                        ; implicit-def: $vgpr24
	s_and_saveexec_b64 s[8:9], s[0:1]
	s_xor_b64 s[0:1], exec, s[8:9]
; %bb.363:
	v_bfe_u32 v24, v25, 16, 1
	s_movk_i32 s7, 0x7fff
	v_add3_u32 v24, v25, v24, s7
                                        ; implicit-def: $vgpr25
; %bb.364:
	s_andn2_saveexec_b64 s[8:9], s[0:1]
; %bb.365:
	v_mov_b32_e32 v24, 0
	v_or_b32_e32 v28, 0x10000, v25
	v_cmp_eq_u32_sdwa s[0:1], v25, v24 src0_sel:WORD_0 src1_sel:DWORD
	v_cndmask_b32_e64 v24, v28, v25, s[0:1]
; %bb.366:
	s_or_b64 exec, exec, s[8:9]
	v_and_b32_e32 v25, 0xffff0000, v18
	v_and_b32_e32 v18, 0xffff0000, v19
	v_fmac_f32_e32 v25, v18, v69
	s_mov_b32 s0, 0x7f800000
	v_and_b32_e32 v18, 0x7f800000, v25
	v_cmp_ne_u32_e64 s[0:1], s0, v18
                                        ; implicit-def: $vgpr18
	s_and_saveexec_b64 s[8:9], s[0:1]
	s_xor_b64 s[0:1], exec, s[8:9]
; %bb.367:
	v_bfe_u32 v18, v25, 16, 1
	s_movk_i32 s7, 0x7fff
	v_add3_u32 v18, v25, v18, s7
                                        ; implicit-def: $vgpr25
; %bb.368:
	s_andn2_saveexec_b64 s[8:9], s[0:1]
; %bb.369:
	v_mov_b32_e32 v18, 0
	v_or_b32_e32 v19, 0x10000, v25
	v_cmp_eq_u32_sdwa s[0:1], v25, v18 src0_sel:WORD_0 src1_sel:DWORD
	v_cndmask_b32_e64 v18, v19, v25, s[0:1]
; %bb.370:
	s_or_b64 exec, exec, s[8:9]
	v_and_b32_e32 v24, 0xffff0000, v24
	v_lshlrev_b32_e32 v19, 16, v20
	v_fmac_f32_e32 v24, v19, v68
	s_mov_b32 s0, 0x7f800000
	v_and_b32_e32 v19, 0x7f800000, v24
	v_cmp_ne_u32_e64 s[0:1], s0, v19
                                        ; implicit-def: $vgpr19
	s_and_saveexec_b64 s[8:9], s[0:1]
	s_xor_b64 s[0:1], exec, s[8:9]
; %bb.371:
	v_bfe_u32 v19, v24, 16, 1
	s_movk_i32 s7, 0x7fff
	v_add3_u32 v19, v24, v19, s7
                                        ; implicit-def: $vgpr24
; %bb.372:
	s_andn2_saveexec_b64 s[8:9], s[0:1]
; %bb.373:
	v_mov_b32_e32 v19, 0
	v_or_b32_e32 v25, 0x10000, v24
	v_cmp_eq_u32_sdwa s[0:1], v24, v19 src0_sel:WORD_0 src1_sel:DWORD
	v_cndmask_b32_e64 v19, v25, v24, s[0:1]
; %bb.374:
	s_or_b64 exec, exec, s[8:9]
	v_and_b32_e32 v18, 0xffff0000, v18
	v_and_b32_e32 v20, 0xffff0000, v20
	v_fmac_f32_e32 v18, v20, v67
	s_mov_b32 s0, 0x7f800000
	v_and_b32_e32 v20, 0x7f800000, v18
	v_cmp_ne_u32_e64 s[0:1], s0, v20
                                        ; implicit-def: $vgpr20
	s_and_saveexec_b64 s[8:9], s[0:1]
	s_xor_b64 s[0:1], exec, s[8:9]
; %bb.375:
	v_bfe_u32 v20, v18, 16, 1
	s_movk_i32 s7, 0x7fff
	v_add3_u32 v20, v18, v20, s7
                                        ; implicit-def: $vgpr18
; %bb.376:
	s_andn2_saveexec_b64 s[8:9], s[0:1]
; %bb.377:
	v_mov_b32_e32 v20, 0
	v_or_b32_e32 v24, 0x10000, v18
	v_cmp_eq_u32_sdwa s[0:1], v18, v20 src0_sel:WORD_0 src1_sel:DWORD
	v_cndmask_b32_e64 v20, v24, v18, s[0:1]
; %bb.378:
	s_or_b64 exec, exec, s[8:9]
	v_and_b32_e32 v19, 0xffff0000, v19
	v_lshlrev_b32_e32 v18, 16, v21
	v_fmac_f32_e32 v19, v18, v1
	s_mov_b32 s0, 0x7f800000
	v_and_b32_e32 v18, 0x7f800000, v19
	v_cmp_ne_u32_e64 s[0:1], s0, v18
                                        ; implicit-def: $vgpr18
	s_and_saveexec_b64 s[8:9], s[0:1]
	s_xor_b64 s[0:1], exec, s[8:9]
; %bb.379:
	v_bfe_u32 v18, v19, 16, 1
	s_movk_i32 s7, 0x7fff
	v_add3_u32 v18, v19, v18, s7
                                        ; implicit-def: $vgpr19
; %bb.380:
	s_andn2_saveexec_b64 s[8:9], s[0:1]
; %bb.381:
	v_mov_b32_e32 v18, 0
	v_or_b32_e32 v24, 0x10000, v19
	v_cmp_eq_u32_sdwa s[0:1], v19, v18 src0_sel:WORD_0 src1_sel:DWORD
	v_cndmask_b32_e64 v18, v24, v19, s[0:1]
; %bb.382:
	s_or_b64 exec, exec, s[8:9]
	v_and_b32_e32 v20, 0xffff0000, v20
	v_and_b32_e32 v19, 0xffff0000, v21
	v_fmac_f32_e32 v20, v19, v66
	s_mov_b32 s0, 0x7f800000
	v_and_b32_e32 v19, 0x7f800000, v20
	v_cmp_ne_u32_e64 s[0:1], s0, v19
                                        ; implicit-def: $vgpr19
	s_and_saveexec_b64 s[8:9], s[0:1]
	s_xor_b64 s[0:1], exec, s[8:9]
; %bb.383:
	v_bfe_u32 v19, v20, 16, 1
	s_movk_i32 s7, 0x7fff
	v_add3_u32 v19, v20, v19, s7
                                        ; implicit-def: $vgpr20
; %bb.384:
	s_andn2_saveexec_b64 s[8:9], s[0:1]
; %bb.385:
	v_mov_b32_e32 v19, 0
	v_or_b32_e32 v21, 0x10000, v20
	v_cmp_eq_u32_sdwa s[0:1], v20, v19 src0_sel:WORD_0 src1_sel:DWORD
	v_cndmask_b32_e64 v19, v21, v20, s[0:1]
; %bb.386:
	s_or_b64 exec, exec, s[8:9]
	s_waitcnt vmcnt(3)
	v_lshlrev_b32_e32 v20, 16, v14
	v_mul_f32_e32 v21, v72, v20
	s_mov_b32 s0, 0x7f800000
	v_and_b32_e32 v20, 0x7f800000, v21
	v_cmp_ne_u32_e64 s[0:1], s0, v20
                                        ; implicit-def: $vgpr20
	s_and_saveexec_b64 s[8:9], s[0:1]
	s_xor_b64 s[0:1], exec, s[8:9]
; %bb.387:
	v_bfe_u32 v20, v21, 16, 1
	s_movk_i32 s7, 0x7fff
	v_add3_u32 v20, v21, v20, s7
                                        ; implicit-def: $vgpr21
; %bb.388:
	s_andn2_saveexec_b64 s[8:9], s[0:1]
; %bb.389:
	v_mov_b32_e32 v20, 0
	v_or_b32_e32 v24, 0x10000, v21
	v_cmp_eq_u32_sdwa s[0:1], v21, v20 src0_sel:WORD_0 src1_sel:DWORD
	v_cndmask_b32_e64 v20, v24, v21, s[0:1]
; %bb.390:
	s_or_b64 exec, exec, s[8:9]
	v_and_b32_e32 v14, 0xffff0000, v14
	v_mul_f32_e32 v21, v71, v14
	s_mov_b32 s0, 0x7f800000
	v_and_b32_e32 v14, 0x7f800000, v21
	v_cmp_ne_u32_e64 s[0:1], s0, v14
                                        ; implicit-def: $vgpr14
	s_and_saveexec_b64 s[8:9], s[0:1]
	s_xor_b64 s[0:1], exec, s[8:9]
; %bb.391:
	v_bfe_u32 v14, v21, 16, 1
	s_movk_i32 s7, 0x7fff
	v_add3_u32 v14, v21, v14, s7
                                        ; implicit-def: $vgpr21
; %bb.392:
	s_andn2_saveexec_b64 s[8:9], s[0:1]
; %bb.393:
	v_mov_b32_e32 v14, 0
	v_or_b32_e32 v24, 0x10000, v21
	v_cmp_eq_u32_sdwa s[0:1], v21, v14 src0_sel:WORD_0 src1_sel:DWORD
	v_cndmask_b32_e64 v14, v24, v21, s[0:1]
; %bb.394:
	s_or_b64 exec, exec, s[8:9]
	v_and_b32_e32 v21, 0xffff0000, v20
	v_lshlrev_b32_e32 v20, 16, v15
	v_fmac_f32_e32 v21, v20, v70
	s_mov_b32 s0, 0x7f800000
	v_and_b32_e32 v20, 0x7f800000, v21
	v_cmp_ne_u32_e64 s[0:1], s0, v20
                                        ; implicit-def: $vgpr20
	s_and_saveexec_b64 s[8:9], s[0:1]
	s_xor_b64 s[0:1], exec, s[8:9]
; %bb.395:
	v_bfe_u32 v20, v21, 16, 1
	s_movk_i32 s7, 0x7fff
	v_add3_u32 v20, v21, v20, s7
                                        ; implicit-def: $vgpr21
; %bb.396:
	s_andn2_saveexec_b64 s[8:9], s[0:1]
; %bb.397:
	v_mov_b32_e32 v20, 0
	v_or_b32_e32 v24, 0x10000, v21
	v_cmp_eq_u32_sdwa s[0:1], v21, v20 src0_sel:WORD_0 src1_sel:DWORD
	v_cndmask_b32_e64 v20, v24, v21, s[0:1]
; %bb.398:
	s_or_b64 exec, exec, s[8:9]
	v_and_b32_e32 v21, 0xffff0000, v14
	v_and_b32_e32 v14, 0xffff0000, v15
	v_fmac_f32_e32 v21, v14, v69
	s_mov_b32 s0, 0x7f800000
	v_and_b32_e32 v14, 0x7f800000, v21
	v_cmp_ne_u32_e64 s[0:1], s0, v14
                                        ; implicit-def: $vgpr14
	s_and_saveexec_b64 s[8:9], s[0:1]
	s_xor_b64 s[0:1], exec, s[8:9]
; %bb.399:
	v_bfe_u32 v14, v21, 16, 1
	s_movk_i32 s7, 0x7fff
	v_add3_u32 v14, v21, v14, s7
                                        ; implicit-def: $vgpr21
; %bb.400:
	s_andn2_saveexec_b64 s[8:9], s[0:1]
; %bb.401:
	v_mov_b32_e32 v14, 0
	v_or_b32_e32 v15, 0x10000, v21
	v_cmp_eq_u32_sdwa s[0:1], v21, v14 src0_sel:WORD_0 src1_sel:DWORD
	v_cndmask_b32_e64 v14, v15, v21, s[0:1]
; %bb.402:
	s_or_b64 exec, exec, s[8:9]
	v_and_b32_e32 v20, 0xffff0000, v20
	v_lshlrev_b32_e32 v15, 16, v16
	v_fmac_f32_e32 v20, v15, v68
	s_mov_b32 s0, 0x7f800000
	v_and_b32_e32 v15, 0x7f800000, v20
	v_cmp_ne_u32_e64 s[0:1], s0, v15
                                        ; implicit-def: $vgpr15
	s_and_saveexec_b64 s[8:9], s[0:1]
	s_xor_b64 s[0:1], exec, s[8:9]
; %bb.403:
	v_bfe_u32 v15, v20, 16, 1
	s_movk_i32 s7, 0x7fff
	v_add3_u32 v15, v20, v15, s7
                                        ; implicit-def: $vgpr20
; %bb.404:
	s_andn2_saveexec_b64 s[8:9], s[0:1]
; %bb.405:
	v_mov_b32_e32 v15, 0
	v_or_b32_e32 v21, 0x10000, v20
	v_cmp_eq_u32_sdwa s[0:1], v20, v15 src0_sel:WORD_0 src1_sel:DWORD
	v_cndmask_b32_e64 v15, v21, v20, s[0:1]
; %bb.406:
	s_or_b64 exec, exec, s[8:9]
	v_and_b32_e32 v14, 0xffff0000, v14
	v_and_b32_e32 v16, 0xffff0000, v16
	v_fmac_f32_e32 v14, v16, v67
	s_mov_b32 s0, 0x7f800000
	v_and_b32_e32 v16, 0x7f800000, v14
	v_cmp_ne_u32_e64 s[0:1], s0, v16
                                        ; implicit-def: $vgpr16
	s_and_saveexec_b64 s[8:9], s[0:1]
	s_xor_b64 s[0:1], exec, s[8:9]
; %bb.407:
	v_bfe_u32 v16, v14, 16, 1
	s_movk_i32 s7, 0x7fff
	v_add3_u32 v16, v14, v16, s7
                                        ; implicit-def: $vgpr14
; %bb.408:
	s_andn2_saveexec_b64 s[8:9], s[0:1]
; %bb.409:
	v_mov_b32_e32 v16, 0
	v_or_b32_e32 v20, 0x10000, v14
	v_cmp_eq_u32_sdwa s[0:1], v14, v16 src0_sel:WORD_0 src1_sel:DWORD
	v_cndmask_b32_e64 v16, v20, v14, s[0:1]
; %bb.410:
	s_or_b64 exec, exec, s[8:9]
	v_and_b32_e32 v15, 0xffff0000, v15
	v_lshlrev_b32_e32 v14, 16, v17
	v_fmac_f32_e32 v15, v14, v1
	s_mov_b32 s0, 0x7f800000
	v_and_b32_e32 v14, 0x7f800000, v15
	v_cmp_ne_u32_e64 s[0:1], s0, v14
                                        ; implicit-def: $vgpr14
	s_and_saveexec_b64 s[8:9], s[0:1]
	s_xor_b64 s[0:1], exec, s[8:9]
; %bb.411:
	v_bfe_u32 v14, v15, 16, 1
	s_movk_i32 s7, 0x7fff
	v_add3_u32 v14, v15, v14, s7
                                        ; implicit-def: $vgpr15
; %bb.412:
	s_andn2_saveexec_b64 s[8:9], s[0:1]
; %bb.413:
	v_mov_b32_e32 v14, 0
	v_or_b32_e32 v20, 0x10000, v15
	v_cmp_eq_u32_sdwa s[0:1], v15, v14 src0_sel:WORD_0 src1_sel:DWORD
	v_cndmask_b32_e64 v14, v20, v15, s[0:1]
; %bb.414:
	s_or_b64 exec, exec, s[8:9]
	v_and_b32_e32 v16, 0xffff0000, v16
	v_and_b32_e32 v15, 0xffff0000, v17
	v_fmac_f32_e32 v16, v15, v66
	s_mov_b32 s0, 0x7f800000
	v_and_b32_e32 v15, 0x7f800000, v16
	v_cmp_ne_u32_e64 s[0:1], s0, v15
                                        ; implicit-def: $vgpr15
	s_and_saveexec_b64 s[8:9], s[0:1]
	s_xor_b64 s[0:1], exec, s[8:9]
; %bb.415:
	v_bfe_u32 v15, v16, 16, 1
	s_movk_i32 s7, 0x7fff
	v_add3_u32 v15, v16, v15, s7
                                        ; implicit-def: $vgpr16
; %bb.416:
	s_andn2_saveexec_b64 s[8:9], s[0:1]
; %bb.417:
	v_mov_b32_e32 v15, 0
	v_or_b32_e32 v17, 0x10000, v16
	v_cmp_eq_u32_sdwa s[0:1], v16, v15 src0_sel:WORD_0 src1_sel:DWORD
	v_cndmask_b32_e64 v15, v17, v16, s[0:1]
; %bb.418:
	s_or_b64 exec, exec, s[8:9]
	s_waitcnt vmcnt(2)
	v_lshlrev_b32_e32 v16, 16, v10
	v_mul_f32_e32 v17, v72, v16
	s_mov_b32 s0, 0x7f800000
	v_and_b32_e32 v16, 0x7f800000, v17
	v_cmp_ne_u32_e64 s[0:1], s0, v16
                                        ; implicit-def: $vgpr16
	s_and_saveexec_b64 s[8:9], s[0:1]
	s_xor_b64 s[0:1], exec, s[8:9]
; %bb.419:
	v_bfe_u32 v16, v17, 16, 1
	s_movk_i32 s7, 0x7fff
	v_add3_u32 v16, v17, v16, s7
                                        ; implicit-def: $vgpr17
; %bb.420:
	s_andn2_saveexec_b64 s[8:9], s[0:1]
; %bb.421:
	v_mov_b32_e32 v16, 0
	v_or_b32_e32 v20, 0x10000, v17
	v_cmp_eq_u32_sdwa s[0:1], v17, v16 src0_sel:WORD_0 src1_sel:DWORD
	v_cndmask_b32_e64 v16, v20, v17, s[0:1]
; %bb.422:
	s_or_b64 exec, exec, s[8:9]
	v_and_b32_e32 v10, 0xffff0000, v10
	v_mul_f32_e32 v17, v71, v10
	s_mov_b32 s0, 0x7f800000
	v_and_b32_e32 v10, 0x7f800000, v17
	v_cmp_ne_u32_e64 s[0:1], s0, v10
                                        ; implicit-def: $vgpr10
	s_and_saveexec_b64 s[8:9], s[0:1]
	s_xor_b64 s[0:1], exec, s[8:9]
; %bb.423:
	v_bfe_u32 v10, v17, 16, 1
	s_movk_i32 s7, 0x7fff
	v_add3_u32 v10, v17, v10, s7
                                        ; implicit-def: $vgpr17
; %bb.424:
	s_andn2_saveexec_b64 s[8:9], s[0:1]
; %bb.425:
	v_mov_b32_e32 v10, 0
	v_or_b32_e32 v20, 0x10000, v17
	v_cmp_eq_u32_sdwa s[0:1], v17, v10 src0_sel:WORD_0 src1_sel:DWORD
	v_cndmask_b32_e64 v10, v20, v17, s[0:1]
; %bb.426:
	s_or_b64 exec, exec, s[8:9]
	v_and_b32_e32 v17, 0xffff0000, v16
	v_lshlrev_b32_e32 v16, 16, v11
	v_fmac_f32_e32 v17, v16, v70
	s_mov_b32 s0, 0x7f800000
	v_and_b32_e32 v16, 0x7f800000, v17
	v_cmp_ne_u32_e64 s[0:1], s0, v16
                                        ; implicit-def: $vgpr16
	s_and_saveexec_b64 s[8:9], s[0:1]
	s_xor_b64 s[0:1], exec, s[8:9]
; %bb.427:
	v_bfe_u32 v16, v17, 16, 1
	s_movk_i32 s7, 0x7fff
	v_add3_u32 v16, v17, v16, s7
                                        ; implicit-def: $vgpr17
; %bb.428:
	s_andn2_saveexec_b64 s[8:9], s[0:1]
; %bb.429:
	v_mov_b32_e32 v16, 0
	v_or_b32_e32 v20, 0x10000, v17
	v_cmp_eq_u32_sdwa s[0:1], v17, v16 src0_sel:WORD_0 src1_sel:DWORD
	v_cndmask_b32_e64 v16, v20, v17, s[0:1]
; %bb.430:
	s_or_b64 exec, exec, s[8:9]
	v_and_b32_e32 v17, 0xffff0000, v10
	v_and_b32_e32 v10, 0xffff0000, v11
	v_fmac_f32_e32 v17, v10, v69
	s_mov_b32 s0, 0x7f800000
	v_and_b32_e32 v10, 0x7f800000, v17
	v_cmp_ne_u32_e64 s[0:1], s0, v10
                                        ; implicit-def: $vgpr10
	s_and_saveexec_b64 s[8:9], s[0:1]
	s_xor_b64 s[0:1], exec, s[8:9]
; %bb.431:
	v_bfe_u32 v10, v17, 16, 1
	s_movk_i32 s7, 0x7fff
	v_add3_u32 v10, v17, v10, s7
                                        ; implicit-def: $vgpr17
; %bb.432:
	s_andn2_saveexec_b64 s[8:9], s[0:1]
; %bb.433:
	v_mov_b32_e32 v10, 0
	v_or_b32_e32 v11, 0x10000, v17
	v_cmp_eq_u32_sdwa s[0:1], v17, v10 src0_sel:WORD_0 src1_sel:DWORD
	v_cndmask_b32_e64 v10, v11, v17, s[0:1]
; %bb.434:
	s_or_b64 exec, exec, s[8:9]
	v_and_b32_e32 v16, 0xffff0000, v16
	v_lshlrev_b32_e32 v11, 16, v12
	v_fmac_f32_e32 v16, v11, v68
	s_mov_b32 s0, 0x7f800000
	v_and_b32_e32 v11, 0x7f800000, v16
	v_cmp_ne_u32_e64 s[0:1], s0, v11
                                        ; implicit-def: $vgpr11
	s_and_saveexec_b64 s[8:9], s[0:1]
	s_xor_b64 s[0:1], exec, s[8:9]
; %bb.435:
	v_bfe_u32 v11, v16, 16, 1
	s_movk_i32 s7, 0x7fff
	v_add3_u32 v11, v16, v11, s7
                                        ; implicit-def: $vgpr16
; %bb.436:
	s_andn2_saveexec_b64 s[8:9], s[0:1]
; %bb.437:
	v_mov_b32_e32 v11, 0
	v_or_b32_e32 v17, 0x10000, v16
	v_cmp_eq_u32_sdwa s[0:1], v16, v11 src0_sel:WORD_0 src1_sel:DWORD
	v_cndmask_b32_e64 v11, v17, v16, s[0:1]
; %bb.438:
	s_or_b64 exec, exec, s[8:9]
	v_and_b32_e32 v10, 0xffff0000, v10
	v_and_b32_e32 v12, 0xffff0000, v12
	v_fmac_f32_e32 v10, v12, v67
	s_mov_b32 s0, 0x7f800000
	v_and_b32_e32 v12, 0x7f800000, v10
	v_cmp_ne_u32_e64 s[0:1], s0, v12
                                        ; implicit-def: $vgpr12
	s_and_saveexec_b64 s[8:9], s[0:1]
	s_xor_b64 s[0:1], exec, s[8:9]
; %bb.439:
	v_bfe_u32 v12, v10, 16, 1
	s_movk_i32 s7, 0x7fff
	v_add3_u32 v12, v10, v12, s7
                                        ; implicit-def: $vgpr10
; %bb.440:
	s_andn2_saveexec_b64 s[8:9], s[0:1]
; %bb.441:
	v_mov_b32_e32 v12, 0
	v_or_b32_e32 v16, 0x10000, v10
	v_cmp_eq_u32_sdwa s[0:1], v10, v12 src0_sel:WORD_0 src1_sel:DWORD
	v_cndmask_b32_e64 v12, v16, v10, s[0:1]
; %bb.442:
	s_or_b64 exec, exec, s[8:9]
	v_and_b32_e32 v11, 0xffff0000, v11
	v_lshlrev_b32_e32 v10, 16, v13
	v_fmac_f32_e32 v11, v10, v1
	s_mov_b32 s0, 0x7f800000
	v_and_b32_e32 v10, 0x7f800000, v11
	v_cmp_ne_u32_e64 s[0:1], s0, v10
                                        ; implicit-def: $vgpr10
	s_and_saveexec_b64 s[8:9], s[0:1]
	s_xor_b64 s[0:1], exec, s[8:9]
; %bb.443:
	v_bfe_u32 v10, v11, 16, 1
	s_movk_i32 s7, 0x7fff
	v_add3_u32 v10, v11, v10, s7
                                        ; implicit-def: $vgpr11
; %bb.444:
	s_andn2_saveexec_b64 s[8:9], s[0:1]
; %bb.445:
	v_mov_b32_e32 v10, 0
	v_or_b32_e32 v16, 0x10000, v11
	v_cmp_eq_u32_sdwa s[0:1], v11, v10 src0_sel:WORD_0 src1_sel:DWORD
	v_cndmask_b32_e64 v10, v16, v11, s[0:1]
; %bb.446:
	s_or_b64 exec, exec, s[8:9]
	v_and_b32_e32 v12, 0xffff0000, v12
	v_and_b32_e32 v11, 0xffff0000, v13
	v_fmac_f32_e32 v12, v11, v66
	s_mov_b32 s0, 0x7f800000
	v_and_b32_e32 v11, 0x7f800000, v12
	v_cmp_ne_u32_e64 s[0:1], s0, v11
                                        ; implicit-def: $vgpr11
	s_and_saveexec_b64 s[8:9], s[0:1]
	s_xor_b64 s[0:1], exec, s[8:9]
; %bb.447:
	v_bfe_u32 v11, v12, 16, 1
	s_movk_i32 s7, 0x7fff
	v_add3_u32 v11, v12, v11, s7
                                        ; implicit-def: $vgpr12
; %bb.448:
	s_andn2_saveexec_b64 s[8:9], s[0:1]
; %bb.449:
	v_mov_b32_e32 v11, 0
	v_or_b32_e32 v13, 0x10000, v12
	v_cmp_eq_u32_sdwa s[0:1], v12, v11 src0_sel:WORD_0 src1_sel:DWORD
	v_cndmask_b32_e64 v11, v13, v12, s[0:1]
; %bb.450:
	s_or_b64 exec, exec, s[8:9]
	s_waitcnt vmcnt(1)
	v_lshlrev_b32_e32 v12, 16, v6
	v_mul_f32_e32 v13, v72, v12
	s_mov_b32 s0, 0x7f800000
	v_and_b32_e32 v12, 0x7f800000, v13
	v_cmp_ne_u32_e64 s[0:1], s0, v12
                                        ; implicit-def: $vgpr12
	s_and_saveexec_b64 s[8:9], s[0:1]
	s_xor_b64 s[0:1], exec, s[8:9]
; %bb.451:
	v_bfe_u32 v12, v13, 16, 1
	s_movk_i32 s7, 0x7fff
	v_add3_u32 v12, v13, v12, s7
                                        ; implicit-def: $vgpr13
; %bb.452:
	s_andn2_saveexec_b64 s[8:9], s[0:1]
; %bb.453:
	v_mov_b32_e32 v12, 0
	v_or_b32_e32 v16, 0x10000, v13
	v_cmp_eq_u32_sdwa s[0:1], v13, v12 src0_sel:WORD_0 src1_sel:DWORD
	v_cndmask_b32_e64 v12, v16, v13, s[0:1]
; %bb.454:
	s_or_b64 exec, exec, s[8:9]
	v_and_b32_e32 v6, 0xffff0000, v6
	v_mul_f32_e32 v13, v71, v6
	s_mov_b32 s0, 0x7f800000
	v_and_b32_e32 v6, 0x7f800000, v13
	v_cmp_ne_u32_e64 s[0:1], s0, v6
                                        ; implicit-def: $vgpr6
	s_and_saveexec_b64 s[8:9], s[0:1]
	s_xor_b64 s[0:1], exec, s[8:9]
; %bb.455:
	v_bfe_u32 v6, v13, 16, 1
	s_movk_i32 s7, 0x7fff
	v_add3_u32 v6, v13, v6, s7
                                        ; implicit-def: $vgpr13
; %bb.456:
	s_andn2_saveexec_b64 s[8:9], s[0:1]
; %bb.457:
	v_mov_b32_e32 v6, 0
	v_or_b32_e32 v16, 0x10000, v13
	v_cmp_eq_u32_sdwa s[0:1], v13, v6 src0_sel:WORD_0 src1_sel:DWORD
	v_cndmask_b32_e64 v6, v16, v13, s[0:1]
; %bb.458:
	s_or_b64 exec, exec, s[8:9]
	v_and_b32_e32 v13, 0xffff0000, v12
	v_lshlrev_b32_e32 v12, 16, v7
	v_fmac_f32_e32 v13, v12, v70
	s_mov_b32 s0, 0x7f800000
	v_and_b32_e32 v12, 0x7f800000, v13
	v_cmp_ne_u32_e64 s[0:1], s0, v12
                                        ; implicit-def: $vgpr12
	s_and_saveexec_b64 s[8:9], s[0:1]
	s_xor_b64 s[0:1], exec, s[8:9]
; %bb.459:
	v_bfe_u32 v12, v13, 16, 1
	s_movk_i32 s7, 0x7fff
	v_add3_u32 v12, v13, v12, s7
                                        ; implicit-def: $vgpr13
; %bb.460:
	s_andn2_saveexec_b64 s[8:9], s[0:1]
; %bb.461:
	v_mov_b32_e32 v12, 0
	v_or_b32_e32 v16, 0x10000, v13
	v_cmp_eq_u32_sdwa s[0:1], v13, v12 src0_sel:WORD_0 src1_sel:DWORD
	v_cndmask_b32_e64 v12, v16, v13, s[0:1]
; %bb.462:
	s_or_b64 exec, exec, s[8:9]
	v_and_b32_e32 v13, 0xffff0000, v6
	v_and_b32_e32 v6, 0xffff0000, v7
	v_fmac_f32_e32 v13, v6, v69
	s_mov_b32 s0, 0x7f800000
	v_and_b32_e32 v6, 0x7f800000, v13
	v_cmp_ne_u32_e64 s[0:1], s0, v6
                                        ; implicit-def: $vgpr6
	s_and_saveexec_b64 s[8:9], s[0:1]
	s_xor_b64 s[0:1], exec, s[8:9]
; %bb.463:
	v_bfe_u32 v6, v13, 16, 1
	s_movk_i32 s7, 0x7fff
	v_add3_u32 v6, v13, v6, s7
                                        ; implicit-def: $vgpr13
; %bb.464:
	s_andn2_saveexec_b64 s[8:9], s[0:1]
; %bb.465:
	v_mov_b32_e32 v6, 0
	v_or_b32_e32 v7, 0x10000, v13
	v_cmp_eq_u32_sdwa s[0:1], v13, v6 src0_sel:WORD_0 src1_sel:DWORD
	v_cndmask_b32_e64 v6, v7, v13, s[0:1]
; %bb.466:
	s_or_b64 exec, exec, s[8:9]
	v_and_b32_e32 v12, 0xffff0000, v12
	v_lshlrev_b32_e32 v7, 16, v8
	v_fmac_f32_e32 v12, v7, v68
	s_mov_b32 s0, 0x7f800000
	v_and_b32_e32 v7, 0x7f800000, v12
	v_cmp_ne_u32_e64 s[0:1], s0, v7
                                        ; implicit-def: $vgpr7
	s_and_saveexec_b64 s[8:9], s[0:1]
	s_xor_b64 s[0:1], exec, s[8:9]
; %bb.467:
	v_bfe_u32 v7, v12, 16, 1
	s_movk_i32 s7, 0x7fff
	v_add3_u32 v7, v12, v7, s7
                                        ; implicit-def: $vgpr12
; %bb.468:
	s_andn2_saveexec_b64 s[8:9], s[0:1]
; %bb.469:
	v_mov_b32_e32 v7, 0
	v_or_b32_e32 v13, 0x10000, v12
	v_cmp_eq_u32_sdwa s[0:1], v12, v7 src0_sel:WORD_0 src1_sel:DWORD
	v_cndmask_b32_e64 v7, v13, v12, s[0:1]
; %bb.470:
	s_or_b64 exec, exec, s[8:9]
	v_and_b32_e32 v6, 0xffff0000, v6
	v_and_b32_e32 v8, 0xffff0000, v8
	v_fmac_f32_e32 v6, v8, v67
	s_mov_b32 s0, 0x7f800000
	v_and_b32_e32 v8, 0x7f800000, v6
	v_cmp_ne_u32_e64 s[0:1], s0, v8
                                        ; implicit-def: $vgpr8
	s_and_saveexec_b64 s[8:9], s[0:1]
	s_xor_b64 s[0:1], exec, s[8:9]
; %bb.471:
	v_bfe_u32 v8, v6, 16, 1
	s_movk_i32 s7, 0x7fff
	v_add3_u32 v8, v6, v8, s7
                                        ; implicit-def: $vgpr6
; %bb.472:
	s_andn2_saveexec_b64 s[8:9], s[0:1]
; %bb.473:
	v_mov_b32_e32 v8, 0
	v_or_b32_e32 v12, 0x10000, v6
	v_cmp_eq_u32_sdwa s[0:1], v6, v8 src0_sel:WORD_0 src1_sel:DWORD
	v_cndmask_b32_e64 v8, v12, v6, s[0:1]
; %bb.474:
	s_or_b64 exec, exec, s[8:9]
	v_and_b32_e32 v7, 0xffff0000, v7
	v_lshlrev_b32_e32 v6, 16, v9
	v_fmac_f32_e32 v7, v6, v1
	s_mov_b32 s0, 0x7f800000
	v_and_b32_e32 v6, 0x7f800000, v7
	v_cmp_ne_u32_e64 s[0:1], s0, v6
                                        ; implicit-def: $vgpr6
	s_and_saveexec_b64 s[8:9], s[0:1]
	s_xor_b64 s[0:1], exec, s[8:9]
; %bb.475:
	v_bfe_u32 v6, v7, 16, 1
	s_movk_i32 s7, 0x7fff
	v_add3_u32 v6, v7, v6, s7
                                        ; implicit-def: $vgpr7
; %bb.476:
	s_andn2_saveexec_b64 s[8:9], s[0:1]
; %bb.477:
	v_mov_b32_e32 v6, 0
	v_or_b32_e32 v12, 0x10000, v7
	v_cmp_eq_u32_sdwa s[0:1], v7, v6 src0_sel:WORD_0 src1_sel:DWORD
	v_cndmask_b32_e64 v6, v12, v7, s[0:1]
; %bb.478:
	s_or_b64 exec, exec, s[8:9]
	v_and_b32_e32 v8, 0xffff0000, v8
	v_and_b32_e32 v7, 0xffff0000, v9
	v_fmac_f32_e32 v8, v7, v66
	s_mov_b32 s0, 0x7f800000
	v_and_b32_e32 v7, 0x7f800000, v8
	v_cmp_ne_u32_e64 s[0:1], s0, v7
                                        ; implicit-def: $vgpr7
	s_and_saveexec_b64 s[8:9], s[0:1]
	s_xor_b64 s[0:1], exec, s[8:9]
; %bb.479:
	v_bfe_u32 v7, v8, 16, 1
	s_movk_i32 s7, 0x7fff
	v_add3_u32 v7, v8, v7, s7
                                        ; implicit-def: $vgpr8
; %bb.480:
	s_andn2_saveexec_b64 s[8:9], s[0:1]
; %bb.481:
	v_mov_b32_e32 v7, 0
	v_or_b32_e32 v9, 0x10000, v8
	v_cmp_eq_u32_sdwa s[0:1], v8, v7 src0_sel:WORD_0 src1_sel:DWORD
	v_cndmask_b32_e64 v7, v9, v8, s[0:1]
; %bb.482:
	s_or_b64 exec, exec, s[8:9]
	s_waitcnt vmcnt(0)
	v_lshlrev_b32_e32 v8, 16, v2
	v_mul_f32_e32 v9, v72, v8
	s_mov_b32 s0, 0x7f800000
	v_and_b32_e32 v8, 0x7f800000, v9
	v_cmp_ne_u32_e64 s[0:1], s0, v8
                                        ; implicit-def: $vgpr8
	s_and_saveexec_b64 s[8:9], s[0:1]
	s_xor_b64 s[0:1], exec, s[8:9]
; %bb.483:
	v_bfe_u32 v8, v9, 16, 1
	s_movk_i32 s7, 0x7fff
	v_add3_u32 v8, v9, v8, s7
                                        ; implicit-def: $vgpr9
; %bb.484:
	s_andn2_saveexec_b64 s[8:9], s[0:1]
; %bb.485:
	v_mov_b32_e32 v8, 0
	v_or_b32_e32 v12, 0x10000, v9
	v_cmp_eq_u32_sdwa s[0:1], v9, v8 src0_sel:WORD_0 src1_sel:DWORD
	v_cndmask_b32_e64 v8, v12, v9, s[0:1]
; %bb.486:
	s_or_b64 exec, exec, s[8:9]
	v_and_b32_e32 v2, 0xffff0000, v2
	v_mul_f32_e32 v9, v71, v2
	s_mov_b32 s0, 0x7f800000
	v_and_b32_e32 v2, 0x7f800000, v9
	v_cmp_ne_u32_e64 s[0:1], s0, v2
                                        ; implicit-def: $vgpr2
	s_and_saveexec_b64 s[8:9], s[0:1]
	s_xor_b64 s[0:1], exec, s[8:9]
; %bb.487:
	v_bfe_u32 v2, v9, 16, 1
	s_movk_i32 s7, 0x7fff
	v_add3_u32 v2, v9, v2, s7
                                        ; implicit-def: $vgpr9
; %bb.488:
	s_andn2_saveexec_b64 s[8:9], s[0:1]
; %bb.489:
	v_mov_b32_e32 v2, 0
	v_or_b32_e32 v12, 0x10000, v9
	v_cmp_eq_u32_sdwa s[0:1], v9, v2 src0_sel:WORD_0 src1_sel:DWORD
	v_cndmask_b32_e64 v2, v12, v9, s[0:1]
; %bb.490:
	s_or_b64 exec, exec, s[8:9]
	v_and_b32_e32 v9, 0xffff0000, v8
	v_lshlrev_b32_e32 v8, 16, v3
	v_fmac_f32_e32 v9, v8, v70
	s_mov_b32 s0, 0x7f800000
	v_and_b32_e32 v8, 0x7f800000, v9
	v_cmp_ne_u32_e64 s[0:1], s0, v8
                                        ; implicit-def: $vgpr8
	s_and_saveexec_b64 s[8:9], s[0:1]
	s_xor_b64 s[0:1], exec, s[8:9]
; %bb.491:
	v_bfe_u32 v8, v9, 16, 1
	s_movk_i32 s7, 0x7fff
	v_add3_u32 v8, v9, v8, s7
                                        ; implicit-def: $vgpr9
; %bb.492:
	s_andn2_saveexec_b64 s[8:9], s[0:1]
; %bb.493:
	v_mov_b32_e32 v8, 0
	v_or_b32_e32 v12, 0x10000, v9
	v_cmp_eq_u32_sdwa s[0:1], v9, v8 src0_sel:WORD_0 src1_sel:DWORD
	v_cndmask_b32_e64 v8, v12, v9, s[0:1]
; %bb.494:
	s_or_b64 exec, exec, s[8:9]
	v_and_b32_e32 v9, 0xffff0000, v2
	v_and_b32_e32 v2, 0xffff0000, v3
	v_fmac_f32_e32 v9, v2, v69
	s_mov_b32 s0, 0x7f800000
	v_and_b32_e32 v2, 0x7f800000, v9
	v_cmp_ne_u32_e64 s[0:1], s0, v2
                                        ; implicit-def: $vgpr2
	s_and_saveexec_b64 s[8:9], s[0:1]
	s_xor_b64 s[0:1], exec, s[8:9]
; %bb.495:
	v_bfe_u32 v2, v9, 16, 1
	s_movk_i32 s7, 0x7fff
	v_add3_u32 v2, v9, v2, s7
                                        ; implicit-def: $vgpr9
; %bb.496:
	s_andn2_saveexec_b64 s[8:9], s[0:1]
; %bb.497:
	v_mov_b32_e32 v2, 0
	v_or_b32_e32 v3, 0x10000, v9
	v_cmp_eq_u32_sdwa s[0:1], v9, v2 src0_sel:WORD_0 src1_sel:DWORD
	v_cndmask_b32_e64 v2, v3, v9, s[0:1]
; %bb.498:
	s_or_b64 exec, exec, s[8:9]
	v_and_b32_e32 v8, 0xffff0000, v8
	v_lshlrev_b32_e32 v3, 16, v4
	v_fmac_f32_e32 v8, v3, v68
	s_mov_b32 s0, 0x7f800000
	v_and_b32_e32 v3, 0x7f800000, v8
	v_cmp_ne_u32_e64 s[0:1], s0, v3
                                        ; implicit-def: $vgpr3
	s_and_saveexec_b64 s[8:9], s[0:1]
	s_xor_b64 s[0:1], exec, s[8:9]
; %bb.499:
	v_bfe_u32 v3, v8, 16, 1
	s_movk_i32 s7, 0x7fff
	v_add3_u32 v3, v8, v3, s7
                                        ; implicit-def: $vgpr8
; %bb.500:
	s_andn2_saveexec_b64 s[8:9], s[0:1]
; %bb.501:
	v_mov_b32_e32 v3, 0
	v_or_b32_e32 v9, 0x10000, v8
	v_cmp_eq_u32_sdwa s[0:1], v8, v3 src0_sel:WORD_0 src1_sel:DWORD
	v_cndmask_b32_e64 v3, v9, v8, s[0:1]
; %bb.502:
	s_or_b64 exec, exec, s[8:9]
	v_and_b32_e32 v8, 0xffff0000, v2
	v_and_b32_e32 v2, 0xffff0000, v4
	v_fmac_f32_e32 v8, v2, v67
	s_mov_b32 s0, 0x7f800000
	v_and_b32_e32 v2, 0x7f800000, v8
	v_cmp_ne_u32_e64 s[0:1], s0, v2
                                        ; implicit-def: $vgpr2
	s_and_saveexec_b64 s[8:9], s[0:1]
	s_xor_b64 s[0:1], exec, s[8:9]
; %bb.503:
	v_bfe_u32 v2, v8, 16, 1
	s_movk_i32 s7, 0x7fff
	v_add3_u32 v2, v8, v2, s7
                                        ; implicit-def: $vgpr8
; %bb.504:
	s_andn2_saveexec_b64 s[8:9], s[0:1]
; %bb.505:
	v_mov_b32_e32 v2, 0
	v_or_b32_e32 v4, 0x10000, v8
	v_cmp_eq_u32_sdwa s[0:1], v8, v2 src0_sel:WORD_0 src1_sel:DWORD
	v_cndmask_b32_e64 v2, v4, v8, s[0:1]
; %bb.506:
	s_or_b64 exec, exec, s[8:9]
	v_and_b32_e32 v3, 0xffff0000, v3
	v_lshlrev_b32_e32 v4, 16, v5
	v_fmac_f32_e32 v3, v4, v1
	s_mov_b32 s0, 0x7f800000
	v_and_b32_e32 v1, 0x7f800000, v3
	v_cmp_ne_u32_e64 s[0:1], s0, v1
                                        ; implicit-def: $vgpr1
	s_and_saveexec_b64 s[8:9], s[0:1]
	s_xor_b64 s[0:1], exec, s[8:9]
; %bb.507:
	v_bfe_u32 v1, v3, 16, 1
	s_movk_i32 s7, 0x7fff
	v_add3_u32 v1, v3, v1, s7
                                        ; implicit-def: $vgpr3
; %bb.508:
	s_andn2_saveexec_b64 s[8:9], s[0:1]
; %bb.509:
	v_mov_b32_e32 v1, 0
	v_or_b32_e32 v4, 0x10000, v3
	v_cmp_eq_u32_sdwa s[0:1], v3, v1 src0_sel:WORD_0 src1_sel:DWORD
	v_cndmask_b32_e64 v1, v4, v3, s[0:1]
; %bb.510:
	s_or_b64 exec, exec, s[8:9]
	v_and_b32_e32 v2, 0xffff0000, v2
	v_and_b32_e32 v3, 0xffff0000, v5
	v_fmac_f32_e32 v2, v3, v66
	s_mov_b32 s0, 0x7f800000
	v_and_b32_e32 v3, 0x7f800000, v2
	v_cmp_ne_u32_e64 s[0:1], s0, v3
                                        ; implicit-def: $vgpr3
	s_and_saveexec_b64 s[8:9], s[0:1]
	s_xor_b64 s[0:1], exec, s[8:9]
; %bb.511:
	v_bfe_u32 v3, v2, 16, 1
	s_movk_i32 s7, 0x7fff
	v_add3_u32 v3, v2, v3, s7
                                        ; implicit-def: $vgpr2
; %bb.512:
	s_andn2_saveexec_b64 s[8:9], s[0:1]
; %bb.513:
	v_mov_b32_e32 v3, 0
	v_or_b32_e32 v4, 0x10000, v2
	v_cmp_eq_u32_sdwa s[0:1], v2, v3 src0_sel:WORD_0 src1_sel:DWORD
	v_cndmask_b32_e64 v3, v4, v2, s[0:1]
; %bb.514:
	s_or_b64 exec, exec, s[8:9]
	v_and_b32_e32 v2, 0xffff0000, v6
	v_and_b32_e32 v4, 0xffff0000, v7
	v_add_f32_e32 v2, v2, v4
	v_and_b32_e32 v4, 0xffff0000, v10
	v_and_b32_e32 v5, 0xffff0000, v11
	v_add_f32_e32 v4, v4, v5
	v_cndmask_b32_e32 v5, 0, v4, vcc
	v_and_b32_e32 v4, 0xffff0000, v14
	v_and_b32_e32 v6, 0xffff0000, v15
	v_add_f32_e32 v4, v4, v6
	v_and_b32_e32 v6, 0xffff0000, v18
	v_and_b32_e32 v7, 0xffff0000, v19
	v_add_f32_e32 v6, v6, v7
	v_cndmask_b32_e32 v7, 0, v6, vcc
	;; [unrolled: 7-line block ×3, first 2 shown]
	v_and_b32_e32 v8, 0xffff0000, v30
	v_and_b32_e32 v9, 0xffff0000, v31
	v_add_f32_e32 v8, v8, v9
	v_cndmask_b32_e32 v10, 0, v8, vcc
	v_and_b32_e32 v8, 0xffff0000, v34
	v_and_b32_e32 v9, 0xffff0000, v35
	v_add_f32_e32 v8, v8, v9
	v_cndmask_b32_e32 v17, 0, v8, vcc
	;; [unrolled: 4-line block ×9, first 2 shown]
	v_and_b32_e32 v8, 0xffff0000, v1
	v_mbcnt_lo_u32_b32 v1, -1, 0
	v_and_b32_e32 v9, 0xffff0000, v3
	v_mbcnt_hi_u32_b32 v22, -1, v1
	v_mov_b32_e32 v12, v9
	v_and_b32_e32 v1, 64, v22
	v_pk_add_f32 v[8:9], v[12:13], v[8:9] op_sel_hi:[0,1]
	v_add_u32_e32 v23, 64, v1
	v_xor_b32_e32 v1, 32, v22
	v_cndmask_b32_e32 v2, 0, v2, vcc
	v_cndmask_b32_e32 v4, 0, v4, vcc
	v_cndmask_b32_e32 v6, 0, v6, vcc
	v_cndmask_b32_e32 v3, 0, v8, vcc
	v_cmp_lt_i32_e32 vcc, v1, v23
	v_cndmask_b32_e32 v1, v22, v1, vcc
	v_lshlrev_b32_e32 v1, 2, v1
	ds_bpermute_b32 v30, v1, v24
	ds_bpermute_b32 v31, v1, v25
	ds_bpermute_b32 v28, v1, v26
	ds_bpermute_b32 v29, v1, v27
	ds_bpermute_b32 v32, v1, v20
	ds_bpermute_b32 v33, v1, v21
	ds_bpermute_b32 v38, v1, v16
	ds_bpermute_b32 v39, v1, v17
	ds_bpermute_b32 v18, v1, v10
	ds_bpermute_b32 v19, v1, v11
	ds_bpermute_b32 v14, v1, v6
	ds_bpermute_b32 v15, v1, v7
	ds_bpermute_b32 v12, v1, v4
	ds_bpermute_b32 v13, v1, v5
	ds_bpermute_b32 v8, v1, v2
	ds_bpermute_b32 v9, v1, v3
	v_xor_b32_e32 v1, 16, v22
	v_cmp_lt_i32_e32 vcc, v1, v23
	v_cndmask_b32_e32 v1, v22, v1, vcc
	v_lshlrev_b32_e32 v1, 2, v1
	s_waitcnt lgkmcnt(14)
	v_pk_add_f32 v[24:25], v[24:25], v[30:31]
	s_waitcnt lgkmcnt(12)
	v_pk_add_f32 v[26:27], v[26:27], v[28:29]
	ds_bpermute_b32 v30, v1, v24
	ds_bpermute_b32 v31, v1, v25
	ds_bpermute_b32 v28, v1, v26
	ds_bpermute_b32 v29, v1, v27
	v_xor_b32_e32 v34, 8, v22
	v_cmp_lt_i32_e32 vcc, v34, v23
	v_cndmask_b32_e32 v34, v22, v34, vcc
	v_lshlrev_b32_e32 v34, 2, v34
	s_waitcnt lgkmcnt(2)
	v_pk_add_f32 v[24:25], v[24:25], v[30:31]
	s_waitcnt lgkmcnt(0)
	v_pk_add_f32 v[26:27], v[26:27], v[28:29]
	ds_bpermute_b32 v30, v34, v24
	ds_bpermute_b32 v31, v34, v25
	v_pk_add_f32 v[20:21], v[20:21], v[32:33]
	ds_bpermute_b32 v28, v34, v26
	ds_bpermute_b32 v29, v34, v27
	;; [unrolled: 1-line block ×4, first 2 shown]
	v_xor_b32_e32 v35, 4, v22
	v_cmp_lt_i32_e32 vcc, v35, v23
	v_cndmask_b32_e32 v35, v22, v35, vcc
	v_lshlrev_b32_e32 v35, 2, v35
	s_waitcnt lgkmcnt(4)
	v_pk_add_f32 v[24:25], v[24:25], v[30:31]
	v_pk_add_f32 v[16:17], v[16:17], v[38:39]
	s_waitcnt lgkmcnt(2)
	v_pk_add_f32 v[26:27], v[26:27], v[28:29]
	ds_bpermute_b32 v30, v35, v24
	ds_bpermute_b32 v31, v35, v25
	s_waitcnt lgkmcnt(2)
	v_pk_add_f32 v[20:21], v[20:21], v[32:33]
	ds_bpermute_b32 v32, v1, v16
	ds_bpermute_b32 v33, v1, v17
	;; [unrolled: 1-line block ×4, first 2 shown]
	v_xor_b32_e32 v36, 2, v22
	v_pk_add_f32 v[6:7], v[6:7], v[14:15]
	v_cmp_lt_i32_e32 vcc, v36, v23
	ds_bpermute_b32 v14, v1, v6
	ds_bpermute_b32 v15, v1, v7
	v_cndmask_b32_e32 v36, v22, v36, vcc
	v_lshlrev_b32_e32 v36, 2, v36
	s_waitcnt lgkmcnt(6)
	v_pk_add_f32 v[24:25], v[24:25], v[30:31]
	s_waitcnt lgkmcnt(4)
	v_pk_add_f32 v[16:17], v[16:17], v[32:33]
	v_pk_add_f32 v[42:43], v[10:11], v[18:19]
	;; [unrolled: 1-line block ×4, first 2 shown]
	s_waitcnt lgkmcnt(2)
	v_pk_add_f32 v[26:27], v[26:27], v[28:29]
	ds_bpermute_b32 v30, v34, v20
	ds_bpermute_b32 v31, v34, v21
	;; [unrolled: 1-line block ×14, first 2 shown]
	s_waitcnt lgkmcnt(14)
	v_pk_add_f32 v[6:7], v[6:7], v[14:15]
	ds_bpermute_b32 v14, v34, v6
	ds_bpermute_b32 v15, v34, v7
	s_waitcnt lgkmcnt(14)
	v_pk_add_f32 v[20:21], v[20:21], v[30:31]
	s_waitcnt lgkmcnt(11)
	v_pk_add_f32 v[32:33], v[16:17], v[32:33]
	;; [unrolled: 2-line block ×6, first 2 shown]
	ds_bpermute_b32 v30, v35, v20
	ds_bpermute_b32 v31, v35, v21
	s_waitcnt lgkmcnt(4)
	v_pk_add_f32 v[18:19], v[26:27], v[28:29]
	ds_bpermute_b32 v26, v34, v24
	ds_bpermute_b32 v27, v34, v25
	;; [unrolled: 1-line block ×6, first 2 shown]
	s_waitcnt lgkmcnt(8)
	v_pk_add_f32 v[6:7], v[6:7], v[14:15]
	ds_bpermute_b32 v14, v35, v6
	ds_bpermute_b32 v15, v35, v7
	s_waitcnt lgkmcnt(8)
	v_pk_add_f32 v[20:21], v[20:21], v[30:31]
	s_waitcnt lgkmcnt(6)
	v_pk_add_f32 v[24:25], v[24:25], v[26:27]
	s_waitcnt lgkmcnt(4)
	v_pk_add_f32 v[4:5], v[4:5], v[12:13]
	s_waitcnt lgkmcnt(2)
	v_pk_add_f32 v[2:3], v[2:3], v[8:9]
	ds_bpermute_b32 v30, v36, v20
	ds_bpermute_b32 v31, v36, v21
	ds_bpermute_b32 v40, v35, v32
	ds_bpermute_b32 v41, v35, v33
	ds_bpermute_b32 v26, v35, v24
	ds_bpermute_b32 v27, v35, v25
	ds_bpermute_b32 v12, v35, v4
	ds_bpermute_b32 v13, v35, v5
	ds_bpermute_b32 v8, v35, v2
	ds_bpermute_b32 v9, v35, v3
	s_waitcnt lgkmcnt(10)
	v_pk_add_f32 v[6:7], v[6:7], v[14:15]
	ds_bpermute_b32 v14, v36, v6
	ds_bpermute_b32 v15, v36, v7
	s_waitcnt lgkmcnt(10)
	v_pk_add_f32 v[10:11], v[20:21], v[30:31]
	s_waitcnt lgkmcnt(8)
	v_pk_add_f32 v[20:21], v[32:33], v[40:41]
	;; [unrolled: 2-line block ×5, first 2 shown]
	ds_bpermute_b32 v28, v36, v20
	ds_bpermute_b32 v29, v36, v21
	;; [unrolled: 1-line block ×8, first 2 shown]
	s_waitcnt lgkmcnt(8)
	v_pk_add_f32 v[4:5], v[6:7], v[14:15]
	v_xor_b32_e32 v14, 1, v22
	v_cmp_lt_i32_e32 vcc, v14, v23
	v_cndmask_b32_e32 v14, v22, v14, vcc
	s_waitcnt lgkmcnt(6)
	v_pk_add_f32 v[12:13], v[20:21], v[28:29]
	s_waitcnt lgkmcnt(4)
	v_pk_add_f32 v[8:9], v[24:25], v[26:27]
	s_waitcnt lgkmcnt(2)
	v_pk_add_f32 v[2:3], v[30:31], v[32:33]
	s_waitcnt lgkmcnt(0)
	v_pk_add_f32 v[6:7], v[38:39], v[40:41]
	v_lshlrev_b32_e32 v37, 2, v14
	ds_bpermute_b32 v32, v37, v18
	ds_bpermute_b32 v33, v37, v19
	;; [unrolled: 1-line block ×16, first 2 shown]
	v_and_b32_e32 v38, 63, v0
	v_cmp_gt_u32_e32 vcc, 16, v38
	s_and_saveexec_b64 s[0:1], vcc
	s_cbranch_execz .LBB7_516
; %bb.515:
	s_waitcnt lgkmcnt(14)
	v_pk_add_f32 v[18:19], v[18:19], v[32:33]
	v_cmp_eq_u32_e32 vcc, 1, v38
	s_waitcnt lgkmcnt(12)
	v_pk_add_f32 v[16:17], v[16:17], v[30:31]
	s_waitcnt lgkmcnt(2)
	v_pk_add_f32 v[2:3], v[2:3], v[14:15]
	v_cndmask_b32_e32 v15, v18, v19, vcc
	v_cmp_eq_u32_e32 vcc, 2, v38
	v_cndmask_b32_e32 v15, v15, v16, vcc
	v_cmp_eq_u32_e32 vcc, 3, v38
	v_pk_add_f32 v[10:11], v[10:11], v[28:29]
	v_cndmask_b32_e32 v15, v15, v17, vcc
	v_cmp_eq_u32_e32 vcc, 4, v38
	v_cndmask_b32_e32 v10, v15, v10, vcc
	v_cmp_eq_u32_e32 vcc, 5, v38
	;; [unrolled: 5-line block ×5, first 2 shown]
	v_cndmask_b32_e32 v4, v4, v5, vcc
	v_cmp_eq_u32_e32 vcc, 12, v38
	v_cndmask_b32_e32 v2, v4, v2, vcc
	v_cmp_eq_u32_e32 vcc, 13, v38
	s_waitcnt lgkmcnt(0)
	v_pk_add_f32 v[6:7], v[6:7], v[22:23]
	v_lshrrev_b32_e32 v14, 4, v0
	v_cndmask_b32_e32 v2, v2, v3, vcc
	v_cmp_eq_u32_e32 vcc, 14, v38
	v_and_b32_e32 v14, 60, v14
	v_cndmask_b32_e32 v2, v2, v6, vcc
	v_cmp_eq_u32_e32 vcc, 15, v38
	v_lshl_or_b32 v14, v38, 8, v14
	v_cndmask_b32_e32 v2, v2, v7, vcc
	ds_write_b32 v14, v2
.LBB7_516:
	s_or_b64 exec, exec, s[0:1]
	s_movk_i32 s0, 0x100
	v_cmp_gt_u32_e32 vcc, s0, v0
	s_waitcnt lgkmcnt(0)
	s_barrier
	s_and_saveexec_b64 s[0:1], vcc
	s_cbranch_execz .LBB7_529
; %bb.517:
	s_load_dword s0, s[4:5], 0x2c
	v_and_b32_e32 v3, 15, v0
	v_mov_b32_e32 v2, 0
	s_waitcnt lgkmcnt(0)
	s_and_b32 s0, 0xffff, s0
	s_lshr_b32 s0, s0, 6
	v_cmp_gt_u32_e32 vcc, s0, v3
	s_and_saveexec_b64 s[0:1], vcc
	s_cbranch_execz .LBB7_519
; %bb.518:
	v_lshlrev_b32_e32 v2, 2, v3
	v_lshlrev_b32_e32 v3, 4, v0
	s_movk_i32 s4, 0x3f00
	v_and_or_b32 v2, v3, s4, v2
	ds_read_b32 v2, v2
.LBB7_519:
	s_or_b64 exec, exec, s[0:1]
	s_waitcnt lgkmcnt(0)
	ds_bpermute_b32 v3, v34, v2
	s_waitcnt lgkmcnt(0)
	v_add_f32_e32 v2, v2, v3
	ds_bpermute_b32 v3, v35, v2
	s_waitcnt lgkmcnt(0)
	v_add_f32_e32 v2, v2, v3
	;; [unrolled: 3-line block ×4, first 2 shown]
	ds_bpermute_b32 v2, v1, v3
	v_and_b32_e32 v1, 31, v0
	v_cmp_eq_u32_e32 vcc, 0, v1
	s_and_b64 exec, exec, vcc
	s_cbranch_execz .LBB7_529
; %bb.520:
	s_mov_b32 s0, 0x7f800000
	v_and_b32_e32 v1, 0x7f800000, v3
	v_cmp_ne_u32_e32 vcc, s0, v1
                                        ; implicit-def: $vgpr1
	s_and_saveexec_b64 s[0:1], vcc
	s_xor_b64 s[0:1], exec, s[0:1]
; %bb.521:
	v_bfe_u32 v1, v3, 16, 1
	s_movk_i32 s4, 0x7fff
	v_add3_u32 v1, v3, v1, s4
                                        ; implicit-def: $vgpr3
; %bb.522:
	s_andn2_saveexec_b64 s[0:1], s[0:1]
; %bb.523:
	v_mov_b32_e32 v1, 0
	v_or_b32_e32 v4, 0x10000, v3
	v_cmp_eq_u32_sdwa vcc, v3, v1 src0_sel:WORD_0 src1_sel:DWORD
	v_cndmask_b32_e32 v1, v4, v3, vcc
; %bb.524:
	s_or_b64 exec, exec, s[0:1]
	s_mov_b32 s0, 0x7f800000
	s_waitcnt lgkmcnt(0)
	v_and_b32_e32 v3, 0x7f800000, v2
	v_cmp_ne_u32_e32 vcc, s0, v3
                                        ; implicit-def: $vgpr3
	s_and_saveexec_b64 s[0:1], vcc
	s_xor_b64 s[0:1], exec, s[0:1]
; %bb.525:
	v_bfe_u32 v3, v2, 16, 1
	s_movk_i32 s4, 0x7fff
	v_add3_u32 v3, v2, v3, s4
                                        ; implicit-def: $vgpr2
; %bb.526:
	s_andn2_saveexec_b64 s[0:1], s[0:1]
; %bb.527:
	v_mov_b32_e32 v3, 0
	v_or_b32_e32 v4, 0x10000, v2
	v_cmp_eq_u32_sdwa vcc, v2, v3 src0_sel:WORD_0 src1_sel:DWORD
	v_cndmask_b32_e32 v3, v4, v2, vcc
; %bb.528:
	s_or_b64 exec, exec, s[0:1]
	s_lshl_b32 s0, s6, 3
	s_and_b32 s0, s0, 0x7ffffff8
	v_lshrrev_b32_e32 v0, 5, v0
	v_or_b32_e32 v4, s0, v0
	v_mov_b32_e32 v5, 0
	v_lshlrev_b64 v[4:5], 2, v[4:5]
	v_mov_b32_e32 v0, s3
	v_add_co_u32_e32 v4, vcc, s2, v4
	s_mov_b32 s0, 0x7060302
	v_addc_co_u32_e32 v5, vcc, v0, v5, vcc
	v_perm_b32 v0, v3, v1, s0
	global_store_dword v[4:5], v0, off
.LBB7_529:
	s_endpgm
	.section	.rodata,"a",@progbits
	.p2align	6, 0x0
	.amdhsa_kernel _Z14LLGemm1_kernelIN3c108BFloat16ELi16EEvPKT_S4_PS2_i
		.amdhsa_group_segment_fixed_size 4096
		.amdhsa_private_segment_fixed_size 0
		.amdhsa_kernarg_size 288
		.amdhsa_user_sgpr_count 6
		.amdhsa_user_sgpr_private_segment_buffer 1
		.amdhsa_user_sgpr_dispatch_ptr 0
		.amdhsa_user_sgpr_queue_ptr 0
		.amdhsa_user_sgpr_kernarg_segment_ptr 1
		.amdhsa_user_sgpr_dispatch_id 0
		.amdhsa_user_sgpr_flat_scratch_init 0
		.amdhsa_user_sgpr_kernarg_preload_length 0
		.amdhsa_user_sgpr_kernarg_preload_offset 0
		.amdhsa_user_sgpr_private_segment_size 0
		.amdhsa_uses_dynamic_stack 0
		.amdhsa_system_sgpr_private_segment_wavefront_offset 0
		.amdhsa_system_sgpr_workgroup_id_x 1
		.amdhsa_system_sgpr_workgroup_id_y 0
		.amdhsa_system_sgpr_workgroup_id_z 0
		.amdhsa_system_sgpr_workgroup_info 0
		.amdhsa_system_vgpr_workitem_id 0
		.amdhsa_next_free_vgpr 76
		.amdhsa_next_free_sgpr 16
		.amdhsa_accum_offset 76
		.amdhsa_reserve_vcc 1
		.amdhsa_reserve_flat_scratch 0
		.amdhsa_float_round_mode_32 0
		.amdhsa_float_round_mode_16_64 0
		.amdhsa_float_denorm_mode_32 3
		.amdhsa_float_denorm_mode_16_64 3
		.amdhsa_dx10_clamp 1
		.amdhsa_ieee_mode 1
		.amdhsa_fp16_overflow 0
		.amdhsa_tg_split 0
		.amdhsa_exception_fp_ieee_invalid_op 0
		.amdhsa_exception_fp_denorm_src 0
		.amdhsa_exception_fp_ieee_div_zero 0
		.amdhsa_exception_fp_ieee_overflow 0
		.amdhsa_exception_fp_ieee_underflow 0
		.amdhsa_exception_fp_ieee_inexact 0
		.amdhsa_exception_int_div_zero 0
	.end_amdhsa_kernel
	.section	.text._Z14LLGemm1_kernelIN3c108BFloat16ELi16EEvPKT_S4_PS2_i,"axG",@progbits,_Z14LLGemm1_kernelIN3c108BFloat16ELi16EEvPKT_S4_PS2_i,comdat
.Lfunc_end7:
	.size	_Z14LLGemm1_kernelIN3c108BFloat16ELi16EEvPKT_S4_PS2_i, .Lfunc_end7-_Z14LLGemm1_kernelIN3c108BFloat16ELi16EEvPKT_S4_PS2_i
                                        ; -- End function
	.section	.AMDGPU.csdata,"",@progbits
; Kernel info:
; codeLenInByte = 16548
; NumSgprs: 20
; NumVgprs: 76
; NumAgprs: 0
; TotalNumVgprs: 76
; ScratchSize: 0
; MemoryBound: 0
; FloatMode: 240
; IeeeMode: 1
; LDSByteSize: 4096 bytes/workgroup (compile time only)
; SGPRBlocks: 2
; VGPRBlocks: 9
; NumSGPRsForWavesPerEU: 20
; NumVGPRsForWavesPerEU: 76
; AccumOffset: 76
; Occupancy: 6
; WaveLimiterHint : 0
; COMPUTE_PGM_RSRC2:SCRATCH_EN: 0
; COMPUTE_PGM_RSRC2:USER_SGPR: 6
; COMPUTE_PGM_RSRC2:TRAP_HANDLER: 0
; COMPUTE_PGM_RSRC2:TGID_X_EN: 1
; COMPUTE_PGM_RSRC2:TGID_Y_EN: 0
; COMPUTE_PGM_RSRC2:TGID_Z_EN: 0
; COMPUTE_PGM_RSRC2:TIDIG_COMP_CNT: 0
; COMPUTE_PGM_RSRC3_GFX90A:ACCUM_OFFSET: 18
; COMPUTE_PGM_RSRC3_GFX90A:TG_SPLIT: 0
	.section	.text._Z16wvSplitK_hf_sml_I6__halfLi64ELi2ELi16ELi8ELi2ELi1EEviiPKT_S3_PS1_ii,"axG",@progbits,_Z16wvSplitK_hf_sml_I6__halfLi64ELi2ELi16ELi8ELi2ELi1EEviiPKT_S3_PS1_ii,comdat
	.protected	_Z16wvSplitK_hf_sml_I6__halfLi64ELi2ELi16ELi8ELi2ELi1EEviiPKT_S3_PS1_ii ; -- Begin function _Z16wvSplitK_hf_sml_I6__halfLi64ELi2ELi16ELi8ELi2ELi1EEviiPKT_S3_PS1_ii
	.globl	_Z16wvSplitK_hf_sml_I6__halfLi64ELi2ELi16ELi8ELi2ELi1EEviiPKT_S3_PS1_ii
	.p2align	8
	.type	_Z16wvSplitK_hf_sml_I6__halfLi64ELi2ELi16ELi8ELi2ELi1EEviiPKT_S3_PS1_ii,@function
_Z16wvSplitK_hf_sml_I6__halfLi64ELi2ELi16ELi8ELi2ELi1EEviiPKT_S3_PS1_ii: ; @_Z16wvSplitK_hf_sml_I6__halfLi64ELi2ELi16ELi8ELi2ELi1EEviiPKT_S3_PS1_ii
; %bb.0:
	s_load_dwordx2 s[8:9], s[4:5], 0x0
	v_and_b32_e32 v2, 0x3ff, v0
	v_bfe_u32 v3, v0, 10, 10
	v_lshlrev_b32_e32 v28, 3, v2
	s_mov_b32 s7, 0
	s_waitcnt lgkmcnt(0)
	s_cmp_lg_u32 s8, 0
	s_cselect_b64 s[2:3], -1, 0
	s_cmp_eq_u32 s8, 0
	s_cbranch_scc1 .LBB8_6
; %bb.1:
	s_load_dwordx2 s[0:1], s[4:5], 0x10
	v_lshlrev_b32_e32 v0, 4, v2
	s_min_i32 s16, s8, 0x8000
	v_lshl_add_u32 v4, v3, 10, v0
	v_lshl_add_u32 v5, v3, 9, v28
	s_mov_b64 s[10:11], 0
	v_mov_b32_e32 v1, 0
                                        ; implicit-def: $sgpr12_sgpr13
	s_branch .LBB8_3
.LBB8_2:                                ;   in Loop: Header=BB8_3 Depth=1
	s_or_b64 exec, exec, s[14:15]
	s_and_b64 s[14:15], exec, s[12:13]
	s_or_b64 s[10:11], s[14:15], s[10:11]
	s_andn2_b64 exec, exec, s[10:11]
	s_cbranch_execz .LBB8_5
.LBB8_3:                                ; =>This Inner Loop Header: Depth=1
	v_add_u32_e32 v0, s7, v5
	v_cmp_gt_u32_e32 vcc, s16, v0
	s_or_b64 s[12:13], s[12:13], exec
	s_and_saveexec_b64 s[14:15], vcc
	s_cbranch_execz .LBB8_2
; %bb.4:                                ;   in Loop: Header=BB8_3 Depth=1
	v_lshlrev_b64 v[6:7], 1, v[0:1]
	s_waitcnt lgkmcnt(0)
	v_mov_b32_e32 v0, s1
	v_add_co_u32_e32 v6, vcc, s0, v6
	v_addc_co_u32_e32 v7, vcc, v0, v7, vcc
	global_load_dwordx4 v[6:9], v[6:7], off
	s_addk_i32 s7, 0x2000
	s_cmp_ge_u32 s7, s16
	s_cselect_b64 s[18:19], -1, 0
	s_andn2_b64 s[12:13], s[12:13], exec
	s_and_b64 s[18:19], s[18:19], exec
	s_or_b64 s[12:13], s[12:13], s[18:19]
	s_waitcnt vmcnt(0)
	ds_write_b128 v4, v[6:9]
	v_add_u32_e32 v4, 0x4000, v4
	s_branch .LBB8_2
.LBB8_5:
	s_or_b64 exec, exec, s[10:11]
.LBB8_6:
	s_waitcnt lgkmcnt(0)
	s_load_dwordx2 s[0:1], s[4:5], 0x20
	s_waitcnt lgkmcnt(0)
	s_barrier
	v_cmp_gt_u32_e32 vcc, s0, v3
	s_and_saveexec_b64 s[10:11], vcc
	s_cbranch_execz .LBB8_28
; %bb.7:
	s_mul_i32 s6, s6, s0
	v_add_u32_e32 v0, s6, v3
	v_lshlrev_b32_e32 v24, 1, v0
	v_cmp_gt_u32_e32 vcc, s9, v24
	s_and_b64 exec, exec, vcc
	s_cbranch_execz .LBB8_28
; %bb.8:
	s_load_dwordx2 s[6:7], s[4:5], 0x8
	s_load_dwordx2 s[10:11], s[4:5], 0x18
	s_mul_i32 s12, s0, s1
	v_mul_lo_u32 v0, s8, v0
	s_lshl_b32 s20, s12, 1
	s_ashr_i32 s5, s8, 31
	s_mov_b32 s4, s8
	v_lshlrev_b32_e32 v30, 1, v0
	s_mul_i32 s12, s12, s8
	v_cndmask_b32_e64 v0, 0, 1, s[2:3]
	v_cmp_eq_u32_e64 s[0:1], 63, v2
	v_lshlrev_b32_e32 v29, 4, v2
	s_lshl_b32 s21, s12, 1
	s_mov_b64 s[12:13], 0
	v_cmp_ne_u32_e64 s[2:3], 1, v0
	v_mov_b32_e32 v27, 0
	s_lshl_b64 s[14:15], s[4:5], 1
                                        ; implicit-def: $vgpr12_vgpr13_vgpr14_vgpr15
                                        ; implicit-def: $vgpr20_vgpr21_vgpr22_vgpr23
                                        ; implicit-def: $vgpr8_vgpr9_vgpr10_vgpr11
                                        ; implicit-def: $vgpr16_vgpr17_vgpr18_vgpr19
                                        ; implicit-def: $vgpr2_vgpr3
                                        ; implicit-def: $vgpr6_vgpr7
	s_branch .LBB8_10
.LBB8_9:                                ;   in Loop: Header=BB8_10 Depth=1
	s_or_b64 exec, exec, s[4:5]
	v_add_u32_e32 v24, s20, v24
	v_cmp_le_u32_e32 vcc, s9, v24
	s_or_b64 s[12:13], vcc, s[12:13]
	v_add_u32_e32 v30, s21, v30
	s_andn2_b64 exec, exec, s[12:13]
	s_cbranch_execz .LBB8_28
.LBB8_10:                               ; =>This Loop Header: Depth=1
                                        ;     Child Loop BB8_14 Depth 2
	s_and_b64 vcc, exec, s[2:3]
	s_mov_b32 s22, 0
	s_cbranch_vccnz .LBB8_25
; %bb.11:                               ;   in Loop: Header=BB8_10 Depth=1
	v_add_u32_e32 v32, v28, v30
	v_mov_b32_e32 v31, 0
	v_mov_b32_e32 v33, v29
	;; [unrolled: 1-line block ×3, first 2 shown]
	s_branch .LBB8_14
.LBB8_12:                               ;   in Loop: Header=BB8_14 Depth=2
	s_or_b64 exec, exec, s[16:17]
.LBB8_13:                               ;   in Loop: Header=BB8_14 Depth=2
	s_or_b64 exec, exec, s[4:5]
	s_addk_i32 s22, 0x400
	s_cmp_ge_u32 s22, s8
	v_add_u32_e32 v33, 0x800, v33
	s_cbranch_scc1 .LBB8_26
.LBB8_14:                               ;   Parent Loop BB8_10 Depth=1
                                        ; =>  This Inner Loop Header: Depth=2
	v_add_u32_e32 v26, s22, v28
	v_cmp_gt_u32_e32 vcc, s8, v26
	v_add_u32_e32 v34, 0x200, v26
	s_and_saveexec_b64 s[16:17], vcc
	s_cbranch_execnz .LBB8_17
; %bb.15:                               ;   in Loop: Header=BB8_14 Depth=2
	s_or_b64 exec, exec, s[16:17]
	s_and_saveexec_b64 s[16:17], vcc
	s_cbranch_execnz .LBB8_20
.LBB8_16:                               ;   in Loop: Header=BB8_14 Depth=2
	s_or_b64 exec, exec, s[16:17]
	s_and_saveexec_b64 s[4:5], vcc
	s_cbranch_execz .LBB8_13
	s_branch .LBB8_23
.LBB8_17:                               ;   in Loop: Header=BB8_14 Depth=2
	v_add_u32_e32 v26, s22, v32
	s_waitcnt vmcnt(1)
	v_lshlrev_b64 v[16:17], 1, v[26:27]
	s_waitcnt lgkmcnt(0)
	v_mov_b32_e32 v18, s7
	v_add_co_u32_e64 v36, s[4:5], s6, v16
	v_addc_co_u32_e64 v37, s[4:5], v18, v17, s[4:5]
	v_mov_b32_e32 v16, s15
	v_add_co_u32_e64 v38, s[4:5], s14, v36
	v_addc_co_u32_e64 v39, s[4:5], v37, v16, s[4:5]
	global_load_dwordx4 v[16:19], v[36:37], off glc slc
	global_load_dwordx4 v[20:23], v[38:39], off glc slc
	v_cmp_gt_u32_e64 s[4:5], s8, v34
	s_and_saveexec_b64 s[18:19], s[4:5]
	s_cbranch_execz .LBB8_19
; %bb.18:                               ;   in Loop: Header=BB8_14 Depth=2
	v_add_u32_e32 v26, 0x200, v26
	v_lshlrev_b64 v[8:9], 1, v[26:27]
	v_mov_b32_e32 v10, s7
	v_add_co_u32_e64 v36, s[4:5], s6, v8
	v_addc_co_u32_e64 v37, s[4:5], v10, v9, s[4:5]
	v_mov_b32_e32 v8, s15
	v_add_co_u32_e64 v38, s[4:5], s14, v36
	v_addc_co_u32_e64 v39, s[4:5], v37, v8, s[4:5]
	global_load_dwordx4 v[8:11], v[36:37], off glc slc
	global_load_dwordx4 v[12:15], v[38:39], off glc slc
.LBB8_19:                               ;   in Loop: Header=BB8_14 Depth=2
	s_or_b64 exec, exec, s[18:19]
	s_or_b64 exec, exec, s[16:17]
	s_and_saveexec_b64 s[16:17], vcc
	s_cbranch_execz .LBB8_16
.LBB8_20:                               ;   in Loop: Header=BB8_14 Depth=2
	s_waitcnt lgkmcnt(0)
	ds_read_b128 v[4:7], v33
	v_cmp_gt_u32_e64 s[4:5], s8, v34
	s_and_saveexec_b64 s[18:19], s[4:5]
	s_cbranch_execz .LBB8_22
; %bb.21:                               ;   in Loop: Header=BB8_14 Depth=2
	ds_read_b128 v[0:3], v33 offset:1024
.LBB8_22:                               ;   in Loop: Header=BB8_14 Depth=2
	s_or_b64 exec, exec, s[18:19]
	s_or_b64 exec, exec, s[16:17]
	s_and_saveexec_b64 s[4:5], vcc
	s_cbranch_execz .LBB8_13
.LBB8_23:                               ;   in Loop: Header=BB8_14 Depth=2
	s_waitcnt vmcnt(1) lgkmcnt(0)
	;;#ASMSTART
	v_dot2c_f32_f16 v25, v4, v16
	;;#ASMEND
	s_waitcnt vmcnt(0)
	;;#ASMSTART
	v_dot2c_f32_f16 v31, v4, v20
	;;#ASMEND
	;;#ASMSTART
	v_dot2c_f32_f16 v25, v5, v17
	;;#ASMEND
	;; [unrolled: 3-line block ×5, first 2 shown]
	v_cmp_gt_u32_e32 vcc, s8, v34
	;;#ASMSTART
	v_dot2c_f32_f16 v25, v7, v19
	;;#ASMEND
	;;#ASMSTART
	v_dot2c_f32_f16 v31, v7, v23
	;;#ASMEND
	s_and_saveexec_b64 s[16:17], vcc
	s_cbranch_execz .LBB8_12
; %bb.24:                               ;   in Loop: Header=BB8_14 Depth=2
	;;#ASMSTART
	v_dot2c_f32_f16 v25, v0, v8
	;;#ASMEND
	;;#ASMSTART
	v_dot2c_f32_f16 v31, v0, v12
	;;#ASMEND
	;; [unrolled: 3-line block ×8, first 2 shown]
	s_branch .LBB8_12
.LBB8_25:                               ;   in Loop: Header=BB8_10 Depth=1
	v_mov_b32_e32 v25, v27
	v_mov_b32_e32 v31, v27
.LBB8_26:                               ;   in Loop: Header=BB8_10 Depth=1
	;;#ASMSTART
	s_nop 0
	v_add_f32 v25, v25, v25 row_shr:8 bound_ctrl:0 
	;;#ASMEND
	;;#ASMSTART
	s_nop 0
	v_add_f32 v31, v31, v31 row_shr:8 bound_ctrl:0 
	;;#ASMEND
	;; [unrolled: 4-line block ×6, first 2 shown]
	;;#ASMSTART
	s_nop 0
	v_add_f32 v25, v25, v25 wave_shr:1 bound_ctrl:0
	;;#ASMEND
	;;#ASMSTART
	s_nop 0
	v_add_f32 v31, v31, v31 wave_shr:1 bound_ctrl:0
	;;#ASMEND
	;;#ASMSTART
	s_nop 0
	v_add_f32 v25, v25, v25 row_bcast:15 bound_ctrl:0
	;;#ASMEND
	;;#ASMSTART
	s_nop 0
	v_add_f32 v31, v31, v31 row_bcast:15 bound_ctrl:0
	;; [unrolled: 4-line block ×4, first 2 shown]
	;;#ASMEND
	s_and_saveexec_b64 s[4:5], s[0:1]
	s_cbranch_execz .LBB8_9
; %bb.27:                               ;   in Loop: Header=BB8_10 Depth=1
	v_cvt_f16_f32_e32 v26, v25
	v_cvt_f16_f32_e32 v31, v31
	v_mov_b32_e32 v25, v27
	v_lshlrev_b64 v[32:33], 1, v[24:25]
	s_waitcnt lgkmcnt(0)
	v_mov_b32_e32 v25, s11
	v_add_co_u32_e32 v32, vcc, s10, v32
	v_addc_co_u32_e32 v33, vcc, v25, v33, vcc
	v_pack_b32_f16 v25, v26, v31
	global_store_dword v[32:33], v25, off
	s_branch .LBB8_9
.LBB8_28:
	s_endpgm
	.section	.rodata,"a",@progbits
	.p2align	6, 0x0
	.amdhsa_kernel _Z16wvSplitK_hf_sml_I6__halfLi64ELi2ELi16ELi8ELi2ELi1EEviiPKT_S3_PS1_ii
		.amdhsa_group_segment_fixed_size 65536
		.amdhsa_private_segment_fixed_size 0
		.amdhsa_kernarg_size 40
		.amdhsa_user_sgpr_count 6
		.amdhsa_user_sgpr_private_segment_buffer 1
		.amdhsa_user_sgpr_dispatch_ptr 0
		.amdhsa_user_sgpr_queue_ptr 0
		.amdhsa_user_sgpr_kernarg_segment_ptr 1
		.amdhsa_user_sgpr_dispatch_id 0
		.amdhsa_user_sgpr_flat_scratch_init 0
		.amdhsa_user_sgpr_kernarg_preload_length 0
		.amdhsa_user_sgpr_kernarg_preload_offset 0
		.amdhsa_user_sgpr_private_segment_size 0
		.amdhsa_uses_dynamic_stack 0
		.amdhsa_system_sgpr_private_segment_wavefront_offset 0
		.amdhsa_system_sgpr_workgroup_id_x 1
		.amdhsa_system_sgpr_workgroup_id_y 0
		.amdhsa_system_sgpr_workgroup_id_z 0
		.amdhsa_system_sgpr_workgroup_info 0
		.amdhsa_system_vgpr_workitem_id 1
		.amdhsa_next_free_vgpr 40
		.amdhsa_next_free_sgpr 23
		.amdhsa_accum_offset 40
		.amdhsa_reserve_vcc 1
		.amdhsa_reserve_flat_scratch 0
		.amdhsa_float_round_mode_32 0
		.amdhsa_float_round_mode_16_64 0
		.amdhsa_float_denorm_mode_32 3
		.amdhsa_float_denorm_mode_16_64 3
		.amdhsa_dx10_clamp 1
		.amdhsa_ieee_mode 1
		.amdhsa_fp16_overflow 0
		.amdhsa_tg_split 0
		.amdhsa_exception_fp_ieee_invalid_op 0
		.amdhsa_exception_fp_denorm_src 0
		.amdhsa_exception_fp_ieee_div_zero 0
		.amdhsa_exception_fp_ieee_overflow 0
		.amdhsa_exception_fp_ieee_underflow 0
		.amdhsa_exception_fp_ieee_inexact 0
		.amdhsa_exception_int_div_zero 0
	.end_amdhsa_kernel
	.section	.text._Z16wvSplitK_hf_sml_I6__halfLi64ELi2ELi16ELi8ELi2ELi1EEviiPKT_S3_PS1_ii,"axG",@progbits,_Z16wvSplitK_hf_sml_I6__halfLi64ELi2ELi16ELi8ELi2ELi1EEviiPKT_S3_PS1_ii,comdat
.Lfunc_end8:
	.size	_Z16wvSplitK_hf_sml_I6__halfLi64ELi2ELi16ELi8ELi2ELi1EEviiPKT_S3_PS1_ii, .Lfunc_end8-_Z16wvSplitK_hf_sml_I6__halfLi64ELi2ELi16ELi8ELi2ELi1EEviiPKT_S3_PS1_ii
                                        ; -- End function
	.section	.AMDGPU.csdata,"",@progbits
; Kernel info:
; codeLenInByte = 1168
; NumSgprs: 27
; NumVgprs: 40
; NumAgprs: 0
; TotalNumVgprs: 40
; ScratchSize: 0
; MemoryBound: 0
; FloatMode: 240
; IeeeMode: 1
; LDSByteSize: 65536 bytes/workgroup (compile time only)
; SGPRBlocks: 3
; VGPRBlocks: 4
; NumSGPRsForWavesPerEU: 27
; NumVGPRsForWavesPerEU: 40
; AccumOffset: 40
; Occupancy: 4
; WaveLimiterHint : 0
; COMPUTE_PGM_RSRC2:SCRATCH_EN: 0
; COMPUTE_PGM_RSRC2:USER_SGPR: 6
; COMPUTE_PGM_RSRC2:TRAP_HANDLER: 0
; COMPUTE_PGM_RSRC2:TGID_X_EN: 1
; COMPUTE_PGM_RSRC2:TGID_Y_EN: 0
; COMPUTE_PGM_RSRC2:TGID_Z_EN: 0
; COMPUTE_PGM_RSRC2:TIDIG_COMP_CNT: 1
; COMPUTE_PGM_RSRC3_GFX90A:ACCUM_OFFSET: 9
; COMPUTE_PGM_RSRC3_GFX90A:TG_SPLIT: 0
	.section	.text._Z12wvSplitK_hf_I6__halfLi64ELi2ELi16ELi8ELi2ELi1EEviiPKT_S3_PS1_ii,"axG",@progbits,_Z12wvSplitK_hf_I6__halfLi64ELi2ELi16ELi8ELi2ELi1EEviiPKT_S3_PS1_ii,comdat
	.protected	_Z12wvSplitK_hf_I6__halfLi64ELi2ELi16ELi8ELi2ELi1EEviiPKT_S3_PS1_ii ; -- Begin function _Z12wvSplitK_hf_I6__halfLi64ELi2ELi16ELi8ELi2ELi1EEviiPKT_S3_PS1_ii
	.globl	_Z12wvSplitK_hf_I6__halfLi64ELi2ELi16ELi8ELi2ELi1EEviiPKT_S3_PS1_ii
	.p2align	8
	.type	_Z12wvSplitK_hf_I6__halfLi64ELi2ELi16ELi8ELi2ELi1EEviiPKT_S3_PS1_ii,@function
_Z12wvSplitK_hf_I6__halfLi64ELi2ELi16ELi8ELi2ELi1EEviiPKT_S3_PS1_ii: ; @_Z12wvSplitK_hf_I6__halfLi64ELi2ELi16ELi8ELi2ELi1EEviiPKT_S3_PS1_ii
; %bb.0:
	s_load_dwordx2 s[2:3], s[4:5], 0x20
	s_load_dwordx2 s[8:9], s[4:5], 0x0
	;; [unrolled: 1-line block ×3, first 2 shown]
	v_bfe_u32 v3, v0, 10, 10
	s_waitcnt lgkmcnt(0)
	s_mul_i32 s0, s6, s2
	v_add_lshl_u32 v26, s0, v3, 1
	s_mov_b32 s6, 1
	v_add_u32_e32 v1, 2, v26
	v_cmp_gt_u32_e32 vcc, s9, v26
	v_cmp_le_u32_e64 s[0:1], s9, v1
	s_mov_b32 s7, s6
	s_and_b64 s[12:13], vcc, s[0:1]
	v_pk_mov_b32 v[24:25], s[6:7], s[6:7] op_sel:[0,1]
	s_and_saveexec_b64 s[0:1], s[12:13]
	s_cbranch_execz .LBB9_6
; %bb.1:
	s_add_i32 s18, s9, -2
	v_cmp_ne_u32_e32 vcc, s18, v26
	v_pk_mov_b32 v[24:25], s[6:7], s[6:7] op_sel:[0,1]
	s_and_saveexec_b64 s[6:7], vcc
	s_cbranch_execz .LBB9_5
; %bb.2:
	v_subrev_u32_e32 v1, s18, v26
	s_mov_b32 s12, 1
	v_cmp_lt_u32_e32 vcc, 1, v1
	v_cndmask_b32_e32 v2, 1, v1, vcc
	s_mov_b64 s[14:15], 0
	s_mov_b64 s[16:17], 0
	s_mov_b32 s13, s12
.LBB9_3:                                ; =>This Inner Loop Header: Depth=1
	s_cmp_lg_u32 s16, 1
	s_cselect_b32 s13, s13, 0
	s_cmp_lg_u32 s16, 0
	s_cselect_b32 s12, s12, 0
	s_add_u32 s16, s16, 1
	s_addc_u32 s17, s17, 0
	v_cmp_eq_u32_e32 vcc, s16, v2
	s_or_b64 s[14:15], vcc, s[14:15]
	v_pk_mov_b32 v[24:25], s[12:13], s[12:13] op_sel:[0,1]
	s_andn2_b64 exec, exec, s[14:15]
	s_cbranch_execnz .LBB9_3
; %bb.4:
	s_or_b64 exec, exec, s[14:15]
	v_mov_b32_e32 v26, s18
.LBB9_5:
	s_or_b64 exec, exec, s[6:7]
.LBB9_6:
	s_or_b64 exec, exec, s[0:1]
	v_and_b32_e32 v2, 0x3ff, v0
	s_cmp_lg_u32 s8, 0
	v_lshlrev_b32_e32 v28, 3, v2
	s_mov_b32 s14, 0
	s_cselect_b64 s[16:17], -1, 0
	s_cmp_eq_u32 s8, 0
	v_lshlrev_b32_e32 v29, 4, v2
	s_cbranch_scc1 .LBB9_12
; %bb.7:
	v_lshlrev_b32_e32 v0, 4, v2
	s_min_i32 s15, s8, 0x8000
	v_lshl_add_u32 v4, v3, 10, v0
	v_lshl_add_u32 v5, v3, 9, v28
	s_mov_b64 s[0:1], 0
	v_mov_b32_e32 v1, 0
                                        ; implicit-def: $sgpr6_sgpr7
	s_branch .LBB9_9
.LBB9_8:                                ;   in Loop: Header=BB9_9 Depth=1
	s_or_b64 exec, exec, s[12:13]
	s_and_b64 s[12:13], exec, s[6:7]
	s_or_b64 s[0:1], s[12:13], s[0:1]
	s_andn2_b64 exec, exec, s[0:1]
	s_cbranch_execz .LBB9_11
.LBB9_9:                                ; =>This Inner Loop Header: Depth=1
	v_add_u32_e32 v0, s14, v5
	v_cmp_gt_u32_e32 vcc, s15, v0
	s_or_b64 s[6:7], s[6:7], exec
	s_and_saveexec_b64 s[12:13], vcc
	s_cbranch_execz .LBB9_8
; %bb.10:                               ;   in Loop: Header=BB9_9 Depth=1
	v_lshlrev_b64 v[6:7], 1, v[0:1]
	v_mov_b32_e32 v0, s11
	v_add_co_u32_e32 v6, vcc, s10, v6
	v_addc_co_u32_e32 v7, vcc, v0, v7, vcc
	global_load_dwordx4 v[6:9], v[6:7], off
	s_addk_i32 s14, 0x2000
	s_cmp_ge_u32 s14, s15
	s_cselect_b64 s[18:19], -1, 0
	s_andn2_b64 s[6:7], s[6:7], exec
	s_and_b64 s[18:19], s[18:19], exec
	s_or_b64 s[6:7], s[6:7], s[18:19]
	s_waitcnt vmcnt(0)
	ds_write_b128 v4, v[6:9]
	v_add_u32_e32 v4, 0x4000, v4
	s_branch .LBB9_8
.LBB9_11:
	s_or_b64 exec, exec, s[0:1]
.LBB9_12:
	v_cmp_gt_u32_e32 vcc, s2, v3
	v_cmp_gt_u32_e64 s[0:1], s9, v26
	s_and_b64 s[0:1], vcc, s[0:1]
	s_waitcnt lgkmcnt(0)
	s_barrier
	s_and_saveexec_b64 s[6:7], s[0:1]
	s_cbranch_execz .LBB9_50
; %bb.13:
	s_load_dwordx2 s[6:7], s[4:5], 0x8
	s_load_dwordx2 s[12:13], s[4:5], 0x18
	s_mul_i32 s2, s2, s3
	s_ashr_i32 s5, s8, 31
	s_mov_b32 s4, s8
	v_cndmask_b32_e64 v0, 0, 1, s[16:17]
	v_cmp_eq_u32_e64 s[0:1], 63, v2
	s_lshl_b32 s26, s2, 1
	s_add_i32 s27, s9, -2
	s_mov_b64 s[14:15], 0
	v_cmp_ne_u32_e64 s[2:3], 1, v0
	v_mov_b32_e32 v31, 0
	s_lshl_b64 s[16:17], s[4:5], 1
	s_movk_i32 s28, 0x7fff
                                        ; implicit-def: $vgpr4_vgpr5_vgpr6_vgpr7
                                        ; implicit-def: $vgpr16_vgpr17_vgpr18_vgpr19
                                        ; implicit-def: $vgpr0_vgpr1_vgpr2_vgpr3
                                        ; implicit-def: $vgpr8_vgpr9_vgpr10_vgpr11
                                        ; implicit-def: $vgpr14_vgpr15
                                        ; implicit-def: $vgpr22_vgpr23
	s_branch .LBB9_16
.LBB9_14:                               ;   in Loop: Header=BB9_16 Depth=1
	s_or_b64 exec, exec, s[20:21]
	v_mov_b32_e32 v26, s27
.LBB9_15:                               ;   in Loop: Header=BB9_16 Depth=1
	s_or_b64 exec, exec, s[18:19]
	v_cmp_le_u32_e32 vcc, s9, v26
	s_or_b64 s[14:15], vcc, s[14:15]
	s_andn2_b64 exec, exec, s[14:15]
	s_cbranch_execz .LBB9_50
.LBB9_16:                               ; =>This Loop Header: Depth=1
                                        ;     Child Loop BB9_20 Depth 2
                                        ;     Child Loop BB9_48 Depth 2
	s_and_b64 vcc, exec, s[2:3]
	s_mov_b32 s24, 0
	s_cbranch_vccnz .LBB9_39
; %bb.17:                               ;   in Loop: Header=BB9_16 Depth=1
	v_mad_u64_u32 v[32:33], s[4:5], v26, s8, v[28:29]
	v_mov_b32_e32 v33, 0
	v_mov_b32_e32 v27, v29
	;; [unrolled: 1-line block ×3, first 2 shown]
	s_branch .LBB9_20
.LBB9_18:                               ;   in Loop: Header=BB9_20 Depth=2
	s_or_b64 exec, exec, s[18:19]
.LBB9_19:                               ;   in Loop: Header=BB9_20 Depth=2
	s_or_b64 exec, exec, s[4:5]
	s_addk_i32 s24, 0x400
	s_cmp_ge_u32 s24, s8
	v_add_u32_e32 v27, 0x800, v27
	s_cbranch_scc1 .LBB9_40
.LBB9_20:                               ;   Parent Loop BB9_16 Depth=1
                                        ; =>  This Inner Loop Header: Depth=2
	v_add_u32_e32 v36, s24, v28
	v_cmp_gt_u32_e32 vcc, s8, v36
	v_add_u32_e32 v34, 0x200, v36
	s_and_saveexec_b64 s[18:19], vcc
	s_cbranch_execnz .LBB9_23
; %bb.21:                               ;   in Loop: Header=BB9_20 Depth=2
	s_or_b64 exec, exec, s[18:19]
	s_and_saveexec_b64 s[18:19], vcc
	s_cbranch_execnz .LBB9_26
.LBB9_22:                               ;   in Loop: Header=BB9_20 Depth=2
	s_or_b64 exec, exec, s[18:19]
	s_and_saveexec_b64 s[4:5], vcc
	s_cbranch_execz .LBB9_19
	s_branch .LBB9_37
.LBB9_23:                               ;   in Loop: Header=BB9_20 Depth=2
	v_add_u32_e32 v30, s24, v32
	s_waitcnt vmcnt(1)
	v_lshlrev_b64 v[8:9], 1, v[30:31]
	s_waitcnt lgkmcnt(0)
	v_mov_b32_e32 v10, s7
	v_add_co_u32_e64 v40, s[4:5], s6, v8
	v_addc_co_u32_e64 v41, s[4:5], v10, v9, s[4:5]
	v_mov_b32_e32 v8, s17
	v_add_co_u32_e64 v42, s[4:5], s16, v40
	v_addc_co_u32_e64 v43, s[4:5], v41, v8, s[4:5]
	global_load_dwordx4 v[8:11], v[40:41], off glc slc
	global_load_dwordx4 v[16:19], v[42:43], off glc slc
	v_cmp_gt_u32_e64 s[4:5], s8, v34
	s_and_saveexec_b64 s[20:21], s[4:5]
	s_cbranch_execz .LBB9_25
; %bb.24:                               ;   in Loop: Header=BB9_20 Depth=2
	v_add_u32_e32 v30, 0x200, v30
	v_lshlrev_b64 v[0:1], 1, v[30:31]
	v_mov_b32_e32 v2, s7
	v_add_co_u32_e64 v40, s[4:5], s6, v0
	v_addc_co_u32_e64 v41, s[4:5], v2, v1, s[4:5]
	v_mov_b32_e32 v0, s17
	v_add_co_u32_e64 v42, s[4:5], s16, v40
	v_addc_co_u32_e64 v43, s[4:5], v41, v0, s[4:5]
	global_load_dwordx4 v[0:3], v[40:41], off glc slc
	global_load_dwordx4 v[4:7], v[42:43], off glc slc
.LBB9_25:                               ;   in Loop: Header=BB9_20 Depth=2
	s_or_b64 exec, exec, s[20:21]
	s_or_b64 exec, exec, s[18:19]
	s_and_saveexec_b64 s[18:19], vcc
	s_cbranch_execz .LBB9_22
.LBB9_26:                               ;   in Loop: Header=BB9_20 Depth=2
	v_cmp_lt_u32_e64 s[4:5], s28, v36
                                        ; implicit-def: $vgpr12_vgpr13
	s_and_saveexec_b64 s[20:21], s[4:5]
	s_xor_b64 s[20:21], exec, s[20:21]
	s_cbranch_execnz .LBB9_29
; %bb.27:                               ;   in Loop: Header=BB9_20 Depth=2
	s_andn2_saveexec_b64 s[4:5], s[20:21]
	s_cbranch_execnz .LBB9_30
.LBB9_28:                               ;   in Loop: Header=BB9_20 Depth=2
	s_or_b64 exec, exec, s[4:5]
	v_cmp_gt_u32_e64 s[4:5], s8, v34
	s_and_saveexec_b64 s[20:21], s[4:5]
	s_cbranch_execnz .LBB9_31
	s_branch .LBB9_36
.LBB9_29:                               ;   in Loop: Header=BB9_20 Depth=2
	v_mov_b32_e32 v37, v31
	s_waitcnt vmcnt(0) lgkmcnt(0)
	v_lshlrev_b64 v[12:13], 1, v[36:37]
	v_mov_b32_e32 v14, s11
	v_add_co_u32_e64 v12, s[4:5], s10, v12
	v_addc_co_u32_e64 v13, s[4:5], v14, v13, s[4:5]
	global_load_dwordx4 v[12:15], v[12:13], off
	s_andn2_saveexec_b64 s[4:5], s[20:21]
	s_cbranch_execz .LBB9_28
.LBB9_30:                               ;   in Loop: Header=BB9_20 Depth=2
	s_waitcnt vmcnt(0) lgkmcnt(0)
	ds_read_b128 v[12:15], v27
	s_or_b64 exec, exec, s[4:5]
	v_cmp_gt_u32_e64 s[4:5], s8, v34
	s_and_saveexec_b64 s[20:21], s[4:5]
	s_cbranch_execz .LBB9_36
.LBB9_31:                               ;   in Loop: Header=BB9_20 Depth=2
	v_cmp_lt_u32_e64 s[4:5], s28, v34
                                        ; implicit-def: $vgpr20_vgpr21
	s_and_saveexec_b64 s[22:23], s[4:5]
	s_xor_b64 s[22:23], exec, s[22:23]
	s_cbranch_execz .LBB9_33
; %bb.32:                               ;   in Loop: Header=BB9_20 Depth=2
	v_mov_b32_e32 v35, v31
	s_waitcnt vmcnt(0) lgkmcnt(0)
	v_lshlrev_b64 v[20:21], 1, v[34:35]
	v_mov_b32_e32 v22, s11
	v_add_co_u32_e64 v20, s[4:5], s10, v20
	v_addc_co_u32_e64 v21, s[4:5], v22, v21, s[4:5]
	global_load_dwordx4 v[20:23], v[20:21], off
.LBB9_33:                               ;   in Loop: Header=BB9_20 Depth=2
	s_andn2_saveexec_b64 s[4:5], s[22:23]
	s_cbranch_execz .LBB9_35
; %bb.34:                               ;   in Loop: Header=BB9_20 Depth=2
	s_waitcnt vmcnt(0) lgkmcnt(0)
	ds_read_b128 v[20:23], v27 offset:1024
.LBB9_35:                               ;   in Loop: Header=BB9_20 Depth=2
	s_or_b64 exec, exec, s[4:5]
.LBB9_36:                               ;   in Loop: Header=BB9_20 Depth=2
	s_or_b64 exec, exec, s[20:21]
	s_or_b64 exec, exec, s[18:19]
	s_and_saveexec_b64 s[4:5], vcc
	s_cbranch_execz .LBB9_19
.LBB9_37:                               ;   in Loop: Header=BB9_20 Depth=2
	s_waitcnt vmcnt(0) lgkmcnt(0)
	;;#ASMSTART
	v_dot2c_f32_f16 v38, v12, v8
	;;#ASMEND
	;;#ASMSTART
	v_dot2c_f32_f16 v33, v12, v16
	;;#ASMEND
	;; [unrolled: 3-line block ×6, first 2 shown]
	v_cmp_gt_u32_e32 vcc, s8, v34
	;;#ASMSTART
	v_dot2c_f32_f16 v38, v15, v11
	;;#ASMEND
	;;#ASMSTART
	v_dot2c_f32_f16 v33, v15, v19
	;;#ASMEND
	s_and_saveexec_b64 s[18:19], vcc
	s_cbranch_execz .LBB9_18
; %bb.38:                               ;   in Loop: Header=BB9_20 Depth=2
	;;#ASMSTART
	v_dot2c_f32_f16 v38, v20, v0
	;;#ASMEND
	;;#ASMSTART
	v_dot2c_f32_f16 v33, v20, v4
	;;#ASMEND
	;; [unrolled: 3-line block ×8, first 2 shown]
	s_branch .LBB9_18
.LBB9_39:                               ;   in Loop: Header=BB9_16 Depth=1
	v_mov_b32_e32 v38, v31
	v_mov_b32_e32 v33, v31
.LBB9_40:                               ;   in Loop: Header=BB9_16 Depth=1
	;;#ASMSTART
	s_nop 0
	v_add_f32 v38, v38, v38 row_shr:8 bound_ctrl:0 
	;;#ASMEND
	;;#ASMSTART
	s_nop 0
	v_add_f32 v33, v33, v33 row_shr:8 bound_ctrl:0 
	;;#ASMEND
	;; [unrolled: 4-line block ×6, first 2 shown]
	;;#ASMSTART
	s_nop 0
	v_add_f32 v38, v38, v38 wave_shr:1 bound_ctrl:0
	;;#ASMEND
	;;#ASMSTART
	s_nop 0
	v_add_f32 v33, v33, v33 wave_shr:1 bound_ctrl:0
	;;#ASMEND
	;;#ASMSTART
	s_nop 0
	v_add_f32 v38, v38, v38 row_bcast:15 bound_ctrl:0
	;;#ASMEND
	;;#ASMSTART
	s_nop 0
	v_add_f32 v33, v33, v33 row_bcast:15 bound_ctrl:0
	;;#ASMEND
	;;#ASMSTART
	s_nop 0
	v_add_f32 v38, v38, v38 row_bcast:31 bound_ctrl:0
	;;#ASMEND
	;;#ASMSTART
	s_nop 0
	v_add_f32 v33, v33, v33 row_bcast:31 bound_ctrl:0
	;;#ASMEND
	s_and_saveexec_b64 s[4:5], s[0:1]
	s_cbranch_execz .LBB9_45
; %bb.41:                               ;   in Loop: Header=BB9_16 Depth=1
	v_cmp_ne_u32_e32 vcc, 0, v24
	s_and_saveexec_b64 s[18:19], vcc
	s_cbranch_execz .LBB9_43
; %bb.42:                               ;   in Loop: Header=BB9_16 Depth=1
	v_mov_b32_e32 v27, v31
	v_cvt_f16_f32_e32 v30, v38
	v_lshlrev_b64 v[34:35], 1, v[26:27]
	s_waitcnt lgkmcnt(0)
	v_mov_b32_e32 v27, s13
	v_add_co_u32_e32 v34, vcc, s12, v34
	v_addc_co_u32_e32 v35, vcc, v27, v35, vcc
	global_store_short v[34:35], v30, off
.LBB9_43:                               ;   in Loop: Header=BB9_16 Depth=1
	s_or_b64 exec, exec, s[18:19]
	v_cmp_ne_u32_e32 vcc, 0, v25
	s_and_b64 exec, exec, vcc
	s_cbranch_execz .LBB9_45
; %bb.44:                               ;   in Loop: Header=BB9_16 Depth=1
	v_add_u32_e32 v30, 1, v26
	v_lshlrev_b64 v[34:35], 1, v[30:31]
	v_cvt_f16_f32_e32 v30, v33
	s_waitcnt lgkmcnt(0)
	v_mov_b32_e32 v27, s13
	v_add_co_u32_e32 v32, vcc, s12, v34
	v_addc_co_u32_e32 v33, vcc, v27, v35, vcc
	global_store_short v[32:33], v30, off
.LBB9_45:                               ;   in Loop: Header=BB9_16 Depth=1
	s_or_b64 exec, exec, s[4:5]
	v_add_u32_e32 v26, s26, v26
	v_add_u32_e32 v27, 2, v26
	v_cmp_gt_u32_e32 vcc, s9, v26
	v_cmp_le_u32_e64 s[4:5], s9, v27
	s_and_b64 s[4:5], vcc, s[4:5]
	s_and_saveexec_b64 s[18:19], s[4:5]
	s_cbranch_execz .LBB9_15
; %bb.46:                               ;   in Loop: Header=BB9_16 Depth=1
	v_cmp_ne_u32_e32 vcc, s27, v26
	s_and_saveexec_b64 s[20:21], vcc
	s_cbranch_execz .LBB9_14
; %bb.47:                               ;   in Loop: Header=BB9_16 Depth=1
	v_subrev_u32_e32 v26, s27, v26
	v_cmp_lt_u32_e32 vcc, 1, v26
	v_cndmask_b32_e32 v26, 1, v26, vcc
	s_mov_b64 s[22:23], 0
	s_mov_b64 s[24:25], 0
.LBB9_48:                               ;   Parent Loop BB9_16 Depth=1
                                        ; =>  This Inner Loop Header: Depth=2
	s_cmp_lg_u32 s24, 1
	s_cselect_b64 vcc, -1, 0
	s_cmp_lg_u32 s24, 0
	v_cndmask_b32_e32 v25, 0, v25, vcc
	s_cselect_b64 vcc, -1, 0
	s_add_u32 s24, s24, 1
	s_addc_u32 s25, s25, 0
	v_cmp_eq_u32_e64 s[4:5], s24, v26
	s_or_b64 s[22:23], s[4:5], s[22:23]
	v_cndmask_b32_e32 v24, 0, v24, vcc
	s_andn2_b64 exec, exec, s[22:23]
	s_cbranch_execnz .LBB9_48
; %bb.49:                               ;   in Loop: Header=BB9_16 Depth=1
	s_or_b64 exec, exec, s[22:23]
	s_branch .LBB9_14
.LBB9_50:
	s_endpgm
	.section	.rodata,"a",@progbits
	.p2align	6, 0x0
	.amdhsa_kernel _Z12wvSplitK_hf_I6__halfLi64ELi2ELi16ELi8ELi2ELi1EEviiPKT_S3_PS1_ii
		.amdhsa_group_segment_fixed_size 65536
		.amdhsa_private_segment_fixed_size 0
		.amdhsa_kernarg_size 40
		.amdhsa_user_sgpr_count 6
		.amdhsa_user_sgpr_private_segment_buffer 1
		.amdhsa_user_sgpr_dispatch_ptr 0
		.amdhsa_user_sgpr_queue_ptr 0
		.amdhsa_user_sgpr_kernarg_segment_ptr 1
		.amdhsa_user_sgpr_dispatch_id 0
		.amdhsa_user_sgpr_flat_scratch_init 0
		.amdhsa_user_sgpr_kernarg_preload_length 0
		.amdhsa_user_sgpr_kernarg_preload_offset 0
		.amdhsa_user_sgpr_private_segment_size 0
		.amdhsa_uses_dynamic_stack 0
		.amdhsa_system_sgpr_private_segment_wavefront_offset 0
		.amdhsa_system_sgpr_workgroup_id_x 1
		.amdhsa_system_sgpr_workgroup_id_y 0
		.amdhsa_system_sgpr_workgroup_id_z 0
		.amdhsa_system_sgpr_workgroup_info 0
		.amdhsa_system_vgpr_workitem_id 1
		.amdhsa_next_free_vgpr 44
		.amdhsa_next_free_sgpr 29
		.amdhsa_accum_offset 44
		.amdhsa_reserve_vcc 1
		.amdhsa_reserve_flat_scratch 0
		.amdhsa_float_round_mode_32 0
		.amdhsa_float_round_mode_16_64 0
		.amdhsa_float_denorm_mode_32 3
		.amdhsa_float_denorm_mode_16_64 3
		.amdhsa_dx10_clamp 1
		.amdhsa_ieee_mode 1
		.amdhsa_fp16_overflow 0
		.amdhsa_tg_split 0
		.amdhsa_exception_fp_ieee_invalid_op 0
		.amdhsa_exception_fp_denorm_src 0
		.amdhsa_exception_fp_ieee_div_zero 0
		.amdhsa_exception_fp_ieee_overflow 0
		.amdhsa_exception_fp_ieee_underflow 0
		.amdhsa_exception_fp_ieee_inexact 0
		.amdhsa_exception_int_div_zero 0
	.end_amdhsa_kernel
	.section	.text._Z12wvSplitK_hf_I6__halfLi64ELi2ELi16ELi8ELi2ELi1EEviiPKT_S3_PS1_ii,"axG",@progbits,_Z12wvSplitK_hf_I6__halfLi64ELi2ELi16ELi8ELi2ELi1EEviiPKT_S3_PS1_ii,comdat
.Lfunc_end9:
	.size	_Z12wvSplitK_hf_I6__halfLi64ELi2ELi16ELi8ELi2ELi1EEviiPKT_S3_PS1_ii, .Lfunc_end9-_Z12wvSplitK_hf_I6__halfLi64ELi2ELi16ELi8ELi2ELi1EEviiPKT_S3_PS1_ii
                                        ; -- End function
	.section	.AMDGPU.csdata,"",@progbits
; Kernel info:
; codeLenInByte = 1676
; NumSgprs: 33
; NumVgprs: 44
; NumAgprs: 0
; TotalNumVgprs: 44
; ScratchSize: 0
; MemoryBound: 1
; FloatMode: 240
; IeeeMode: 1
; LDSByteSize: 65536 bytes/workgroup (compile time only)
; SGPRBlocks: 4
; VGPRBlocks: 5
; NumSGPRsForWavesPerEU: 33
; NumVGPRsForWavesPerEU: 44
; AccumOffset: 44
; Occupancy: 4
; WaveLimiterHint : 0
; COMPUTE_PGM_RSRC2:SCRATCH_EN: 0
; COMPUTE_PGM_RSRC2:USER_SGPR: 6
; COMPUTE_PGM_RSRC2:TRAP_HANDLER: 0
; COMPUTE_PGM_RSRC2:TGID_X_EN: 1
; COMPUTE_PGM_RSRC2:TGID_Y_EN: 0
; COMPUTE_PGM_RSRC2:TGID_Z_EN: 0
; COMPUTE_PGM_RSRC2:TIDIG_COMP_CNT: 1
; COMPUTE_PGM_RSRC3_GFX90A:ACCUM_OFFSET: 10
; COMPUTE_PGM_RSRC3_GFX90A:TG_SPLIT: 0
	.section	.text._Z16wvSplitK_hf_big_I6__halfLi64ELi2ELi16ELi8ELi2ELi1EEviiPKT_S3_PS1_ii,"axG",@progbits,_Z16wvSplitK_hf_big_I6__halfLi64ELi2ELi16ELi8ELi2ELi1EEviiPKT_S3_PS1_ii,comdat
	.protected	_Z16wvSplitK_hf_big_I6__halfLi64ELi2ELi16ELi8ELi2ELi1EEviiPKT_S3_PS1_ii ; -- Begin function _Z16wvSplitK_hf_big_I6__halfLi64ELi2ELi16ELi8ELi2ELi1EEviiPKT_S3_PS1_ii
	.globl	_Z16wvSplitK_hf_big_I6__halfLi64ELi2ELi16ELi8ELi2ELi1EEviiPKT_S3_PS1_ii
	.p2align	8
	.type	_Z16wvSplitK_hf_big_I6__halfLi64ELi2ELi16ELi8ELi2ELi1EEviiPKT_S3_PS1_ii,@function
_Z16wvSplitK_hf_big_I6__halfLi64ELi2ELi16ELi8ELi2ELi1EEviiPKT_S3_PS1_ii: ; @_Z16wvSplitK_hf_big_I6__halfLi64ELi2ELi16ELi8ELi2ELi1EEviiPKT_S3_PS1_ii
; %bb.0:
	s_load_dwordx2 s[2:3], s[4:5], 0x20
	v_bfe_u32 v1, v0, 10, 10
	s_waitcnt lgkmcnt(0)
	v_cmp_gt_u32_e32 vcc, s2, v1
	s_and_saveexec_b64 s[0:1], vcc
	s_cbranch_execz .LBB10_51
; %bb.1:
	s_load_dwordx2 s[10:11], s[4:5], 0x0
	s_mul_i32 s0, s6, s2
	v_add_lshl_u32 v26, s0, v1, 1
	s_mov_b32 s6, 1
	v_add_u32_e32 v2, 2, v26
	s_waitcnt lgkmcnt(0)
	v_cmp_gt_u32_e32 vcc, s11, v26
	v_cmp_le_u32_e64 s[0:1], s11, v2
	s_mov_b32 s7, s6
	s_and_b64 s[8:9], vcc, s[0:1]
	v_pk_mov_b32 v[24:25], s[6:7], s[6:7] op_sel:[0,1]
	s_and_saveexec_b64 s[0:1], s[8:9]
	s_cbranch_execz .LBB10_7
; %bb.2:
	s_add_i32 s16, s11, -2
	v_cmp_ne_u32_e32 vcc, s16, v26
	v_pk_mov_b32 v[24:25], s[6:7], s[6:7] op_sel:[0,1]
	s_and_saveexec_b64 s[6:7], vcc
	s_cbranch_execz .LBB10_6
; %bb.3:
	v_subrev_u32_e32 v2, s16, v26
	s_mov_b32 s8, 1
	v_cmp_lt_u32_e32 vcc, 1, v2
	v_cndmask_b32_e32 v2, 1, v2, vcc
	s_mov_b64 s[12:13], 0
	s_mov_b64 s[14:15], 0
	s_mov_b32 s9, s8
.LBB10_4:                               ; =>This Inner Loop Header: Depth=1
	s_cmp_lg_u32 s14, 1
	s_cselect_b32 s9, s9, 0
	s_cmp_lg_u32 s14, 0
	s_cselect_b32 s8, s8, 0
	s_add_u32 s14, s14, 1
	s_addc_u32 s15, s15, 0
	v_cmp_eq_u32_e32 vcc, s14, v2
	s_or_b64 s[12:13], vcc, s[12:13]
	v_pk_mov_b32 v[24:25], s[8:9], s[8:9] op_sel:[0,1]
	s_andn2_b64 exec, exec, s[12:13]
	s_cbranch_execnz .LBB10_4
; %bb.5:
	s_or_b64 exec, exec, s[12:13]
	v_mov_b32_e32 v26, s16
.LBB10_6:
	s_or_b64 exec, exec, s[6:7]
.LBB10_7:
	s_or_b64 exec, exec, s[0:1]
	s_lshl_b32 s0, s2, 1
	s_abs_i32 s1, s0
	v_cvt_f32_u32_e32 v2, s1
	s_sub_i32 s8, 0, s1
	s_abs_i32 s7, s11
	s_ashr_i32 s6, s11, 31
	v_rcp_iflag_f32_e32 v2, v2
	v_mul_f32_e32 v2, 0x4f7ffffe, v2
	v_cvt_u32_f32_e32 v2, v2
	v_readfirstlane_b32 s9, v2
	s_mul_i32 s8, s8, s9
	s_mul_hi_u32 s8, s9, s8
	s_add_i32 s9, s9, s8
	s_mul_hi_u32 s8, s7, s9
	s_mul_i32 s8, s8, s1
	s_sub_i32 s7, s7, s8
	s_sub_i32 s8, s7, s1
	s_cmp_ge_u32 s7, s1
	s_cselect_b32 s7, s8, s7
	s_sub_i32 s8, s7, s1
	s_cmp_ge_u32 s7, s1
	s_cselect_b32 s1, s8, s7
	s_xor_b32 s1, s1, s6
	s_sub_i32 s1, s1, s6
	s_add_i32 s0, s0, s11
	s_sub_i32 s0, s0, s1
	s_cmp_eq_u32 s1, 0
	s_cselect_b32 s30, s11, s0
	v_cmp_gt_u32_e32 vcc, s30, v26
	s_and_b64 exec, exec, vcc
	s_cbranch_execz .LBB10_51
; %bb.8:
	s_load_dwordx4 s[12:15], s[4:5], 0x8
	s_load_dwordx2 s[16:17], s[4:5], 0x18
	s_mov_b32 s0, 0
	v_cvt_f64_i32_e32 v[2:3], s10
	s_mov_b32 s1, 0x40e00000
	v_min_f64 v[2:3], v[2:3], s[0:1]
	s_cmp_lg_u32 s10, 0
	v_and_b32_e32 v0, 0x3ff, v0
	s_mul_i32 s0, s3, s2
	v_cvt_u32_f64_e32 v2, v[2:3]
	v_lshlrev_b32_e32 v30, 3, v0
	s_cselect_b64 s[4:5], -1, 0
	s_lshl_b32 s33, s2, 9
	s_lshl_b32 s34, s0, 1
	v_cmp_eq_u32_e64 s[0:1], 63, v0
	s_add_i32 s35, s11, -2
	s_ashr_i32 s7, s10, 31
	v_lshlrev_b32_e32 v0, 4, v0
	s_waitcnt lgkmcnt(0)
	s_add_u32 s36, s16, 2
	v_lshl_add_u32 v31, v1, 10, v0
	v_cndmask_b32_e64 v0, 0, 1, s[4:5]
	v_cmp_ne_u32_e32 vcc, 0, v2
	s_mov_b32 s6, s10
	s_addc_u32 s37, s17, 0
	s_lshl_b32 s38, s2, 10
	v_cmp_ne_u32_e64 s[2:3], 1, v0
	v_cndmask_b32_e64 v0, 0, 1, vcc
	v_readfirstlane_b32 s31, v2
	v_lshl_add_u32 v32, v1, 9, v30
	s_mov_b64 s[18:19], 0
	v_cmp_ne_u32_e64 s[4:5], 1, v0
	v_mov_b32_e32 v29, 0
	s_lshl_b64 s[20:21], s[6:7], 1
                                        ; implicit-def: $vgpr16_vgpr17_vgpr18_vgpr19
                                        ; implicit-def: $vgpr20_vgpr21_vgpr22_vgpr23
                                        ; implicit-def: $vgpr8_vgpr9_vgpr10_vgpr11
                                        ; implicit-def: $vgpr12_vgpr13_vgpr14_vgpr15
                                        ; implicit-def: $vgpr2_vgpr3
                                        ; implicit-def: $vgpr6_vgpr7
	s_branch .LBB10_12
.LBB10_9:                               ;   in Loop: Header=BB10_12 Depth=1
	s_or_b64 exec, exec, s[24:25]
	v_mov_b32_e32 v26, s35
.LBB10_10:                              ;   in Loop: Header=BB10_12 Depth=1
	s_or_b64 exec, exec, s[22:23]
.LBB10_11:                              ;   in Loop: Header=BB10_12 Depth=1
	s_or_b64 exec, exec, s[8:9]
	v_cmp_le_u32_e32 vcc, s30, v26
	s_or_b64 s[18:19], vcc, s[18:19]
	s_andn2_b64 exec, exec, s[18:19]
	s_cbranch_execz .LBB10_51
.LBB10_12:                              ; =>This Loop Header: Depth=1
                                        ;     Child Loop BB10_17 Depth 2
                                        ;       Child Loop BB10_21 Depth 3
                                        ;     Child Loop BB10_49 Depth 2
	s_and_b64 vcc, exec, s[2:3]
	s_mov_b32 s28, 0
	s_cbranch_vccnz .LBB10_37
; %bb.13:                               ;   in Loop: Header=BB10_12 Depth=1
	v_cmp_gt_u32_e64 s[6:7], s11, v26
	v_mul_lo_u32 v27, v26, s10
	v_mov_b32_e32 v33, 0
	v_mov_b32_e32 v34, 0
	s_mov_b32 s29, 0
	s_branch .LBB10_17
.LBB10_14:                              ;   in Loop: Header=BB10_17 Depth=2
	s_or_b64 exec, exec, s[24:25]
.LBB10_15:                              ;   in Loop: Header=BB10_17 Depth=2
	s_or_b64 exec, exec, s[8:9]
.LBB10_16:                              ;   in Loop: Header=BB10_17 Depth=2
	s_or_b64 exec, exec, s[22:23]
	s_addk_i32 s29, 0x400
	s_cmp_ge_u32 s29, s10
	s_cbranch_scc1 .LBB10_38
.LBB10_17:                              ;   Parent Loop BB10_12 Depth=1
                                        ; =>  This Loop Header: Depth=2
                                        ;       Child Loop BB10_21 Depth 3
	s_cmp_eq_u32 s29, 0
	s_cselect_b64 s[8:9], -1, 0
	s_add_i32 s22, s28, s31
	s_cmp_eq_u32 s29, s22
	s_cselect_b64 s[24:25], -1, 0
	s_or_b64 s[24:25], s[8:9], s[24:25]
	s_andn2_b64 vcc, exec, s[24:25]
	s_cbranch_vccnz .LBB10_25
; %bb.18:                               ;   in Loop: Header=BB10_17 Depth=2
	s_and_b64 s[8:9], s[8:9], exec
	s_cselect_b32 s28, s28, s22
	s_and_b64 vcc, exec, s[4:5]
	s_barrier
	s_cbranch_vccnz .LBB10_24
; %bb.19:                               ;   in Loop: Header=BB10_17 Depth=2
	v_add_u32_e32 v35, s28, v32
	s_mov_b32 s26, 0
	s_mov_b64 s[22:23], 0
	v_mov_b32_e32 v36, v31
                                        ; implicit-def: $sgpr24_sgpr25
	s_branch .LBB10_21
.LBB10_20:                              ;   in Loop: Header=BB10_21 Depth=3
	s_or_b64 exec, exec, s[8:9]
	s_and_b64 s[8:9], exec, s[24:25]
	s_or_b64 s[22:23], s[8:9], s[22:23]
	s_andn2_b64 exec, exec, s[22:23]
	s_cbranch_execz .LBB10_23
.LBB10_21:                              ;   Parent Loop BB10_12 Depth=1
                                        ;     Parent Loop BB10_17 Depth=2
                                        ; =>    This Inner Loop Header: Depth=3
	v_add_u32_e32 v37, s26, v32
	v_add_u32_e32 v28, s26, v35
	v_cmp_gt_u32_e32 vcc, s10, v28
	v_cmp_gt_u32_e64 s[8:9], s31, v37
	s_and_b64 s[40:41], vcc, s[8:9]
	s_or_b64 s[24:25], s[24:25], exec
	s_and_saveexec_b64 s[8:9], s[40:41]
	s_cbranch_execz .LBB10_20
; %bb.22:                               ;   in Loop: Header=BB10_21 Depth=3
	v_lshlrev_b64 v[38:39], 1, v[28:29]
	v_mov_b32_e32 v28, s15
	v_add_co_u32_e32 v38, vcc, s14, v38
	v_addc_co_u32_e32 v39, vcc, v28, v39, vcc
	global_load_dwordx4 v[38:41], v[38:39], off
	s_add_i32 s26, s26, s33
	s_cmp_ge_u32 s26, s31
	s_cselect_b64 s[40:41], -1, 0
	s_andn2_b64 s[24:25], s[24:25], exec
	s_and_b64 s[40:41], s[40:41], exec
	s_or_b64 s[24:25], s[24:25], s[40:41]
	s_waitcnt vmcnt(0)
	ds_write_b128 v36, v[38:41]
	v_add_u32_e32 v36, s38, v36
	s_branch .LBB10_20
.LBB10_23:                              ;   in Loop: Header=BB10_17 Depth=2
	s_or_b64 exec, exec, s[22:23]
.LBB10_24:                              ;   in Loop: Header=BB10_17 Depth=2
	s_waitcnt lgkmcnt(0)
	s_barrier
.LBB10_25:                              ;   in Loop: Header=BB10_17 Depth=2
	s_and_saveexec_b64 s[22:23], s[6:7]
	s_cbranch_execz .LBB10_16
; %bb.26:                               ;   in Loop: Header=BB10_17 Depth=2
	v_add_u32_e32 v35, s29, v30
	v_cmp_gt_u32_e32 vcc, s10, v35
	s_and_saveexec_b64 s[24:25], vcc
	s_cbranch_execnz .LBB10_29
; %bb.27:                               ;   in Loop: Header=BB10_17 Depth=2
	s_or_b64 exec, exec, s[24:25]
	s_and_saveexec_b64 s[24:25], vcc
	s_cbranch_execnz .LBB10_32
.LBB10_28:                              ;   in Loop: Header=BB10_17 Depth=2
	s_or_b64 exec, exec, s[24:25]
	s_and_saveexec_b64 s[8:9], vcc
	s_cbranch_execz .LBB10_15
	s_branch .LBB10_35
.LBB10_29:                              ;   in Loop: Header=BB10_17 Depth=2
	v_add_u32_e32 v28, v35, v27
	s_waitcnt vmcnt(1)
	v_lshlrev_b64 v[12:13], 1, v[28:29]
	v_mov_b32_e32 v14, s13
	v_add_co_u32_e64 v36, s[8:9], s12, v12
	v_addc_co_u32_e64 v37, s[8:9], v14, v13, s[8:9]
	v_mov_b32_e32 v12, s21
	v_add_co_u32_e64 v38, s[8:9], s20, v36
	v_addc_co_u32_e64 v39, s[8:9], v37, v12, s[8:9]
	global_load_dwordx4 v[12:15], v[36:37], off glc slc
	global_load_dwordx4 v[20:23], v[38:39], off glc slc
	v_add_u32_e32 v28, 0x200, v35
	v_cmp_gt_u32_e64 s[8:9], s10, v28
	s_and_saveexec_b64 s[26:27], s[8:9]
	s_cbranch_execz .LBB10_31
; %bb.30:                               ;   in Loop: Header=BB10_17 Depth=2
	v_add_u32_e32 v28, v28, v27
	v_lshlrev_b64 v[8:9], 1, v[28:29]
	v_mov_b32_e32 v10, s13
	v_add_co_u32_e64 v36, s[8:9], s12, v8
	v_addc_co_u32_e64 v37, s[8:9], v10, v9, s[8:9]
	v_mov_b32_e32 v8, s21
	v_add_co_u32_e64 v38, s[8:9], s20, v36
	v_addc_co_u32_e64 v39, s[8:9], v37, v8, s[8:9]
	global_load_dwordx4 v[8:11], v[36:37], off glc slc
	global_load_dwordx4 v[16:19], v[38:39], off glc slc
.LBB10_31:                              ;   in Loop: Header=BB10_17 Depth=2
	s_or_b64 exec, exec, s[26:27]
	s_or_b64 exec, exec, s[24:25]
	s_and_saveexec_b64 s[24:25], vcc
	s_cbranch_execz .LBB10_28
.LBB10_32:                              ;   in Loop: Header=BB10_17 Depth=2
	s_waitcnt lgkmcnt(0)
	v_subrev_u32_e32 v4, s28, v35
	v_lshlrev_b32_e32 v28, 1, v4
	ds_read_b128 v[4:7], v28
	v_add_u32_e32 v36, 0x200, v35
	v_cmp_gt_u32_e64 s[8:9], s10, v36
	s_and_saveexec_b64 s[26:27], s[8:9]
	s_cbranch_execz .LBB10_34
; %bb.33:                               ;   in Loop: Header=BB10_17 Depth=2
	ds_read_b128 v[0:3], v28 offset:1024
.LBB10_34:                              ;   in Loop: Header=BB10_17 Depth=2
	s_or_b64 exec, exec, s[26:27]
	s_or_b64 exec, exec, s[24:25]
	s_and_saveexec_b64 s[8:9], vcc
	s_cbranch_execz .LBB10_15
.LBB10_35:                              ;   in Loop: Header=BB10_17 Depth=2
	s_waitcnt vmcnt(1) lgkmcnt(0)
	;;#ASMSTART
	v_dot2c_f32_f16 v34, v4, v12
	;;#ASMEND
	s_waitcnt vmcnt(0)
	;;#ASMSTART
	v_dot2c_f32_f16 v33, v4, v20
	;;#ASMEND
	;;#ASMSTART
	v_dot2c_f32_f16 v34, v5, v13
	;;#ASMEND
	;; [unrolled: 3-line block ×3, first 2 shown]
	v_add_u32_e32 v28, 0x200, v35
	;;#ASMSTART
	v_dot2c_f32_f16 v34, v6, v14
	;;#ASMEND
	;;#ASMSTART
	v_dot2c_f32_f16 v33, v6, v22
	;;#ASMEND
	v_cmp_gt_u32_e32 vcc, s10, v28
	;;#ASMSTART
	v_dot2c_f32_f16 v34, v7, v15
	;;#ASMEND
	;;#ASMSTART
	v_dot2c_f32_f16 v33, v7, v23
	;;#ASMEND
	s_and_saveexec_b64 s[24:25], vcc
	s_cbranch_execz .LBB10_14
; %bb.36:                               ;   in Loop: Header=BB10_17 Depth=2
	;;#ASMSTART
	v_dot2c_f32_f16 v34, v0, v8
	;;#ASMEND
	;;#ASMSTART
	v_dot2c_f32_f16 v33, v0, v16
	;;#ASMEND
	;; [unrolled: 3-line block ×8, first 2 shown]
	s_branch .LBB10_14
.LBB10_37:                              ;   in Loop: Header=BB10_12 Depth=1
	v_mov_b32_e32 v34, v29
	v_mov_b32_e32 v33, v29
.LBB10_38:                              ;   in Loop: Header=BB10_12 Depth=1
	v_cmp_le_u32_e32 vcc, s11, v26
	s_and_saveexec_b64 s[6:7], vcc
	s_xor_b64 s[6:7], exec, s[6:7]
; %bb.39:                               ;   in Loop: Header=BB10_12 Depth=1
	v_add_u32_e32 v26, s34, v26
                                        ; implicit-def: $vgpr34
                                        ; implicit-def: $vgpr33
; %bb.40:                               ;   in Loop: Header=BB10_12 Depth=1
	s_andn2_saveexec_b64 s[8:9], s[6:7]
	s_cbranch_execz .LBB10_11
; %bb.41:                               ;   in Loop: Header=BB10_12 Depth=1
	;;#ASMSTART
	s_nop 0
	v_add_f32 v34, v34, v34 row_shr:8 bound_ctrl:0 
	;;#ASMEND
	;;#ASMSTART
	s_nop 0
	v_add_f32 v33, v33, v33 row_shr:8 bound_ctrl:0 
	;;#ASMEND
	;; [unrolled: 4-line block ×6, first 2 shown]
	;;#ASMSTART
	s_nop 0
	v_add_f32 v34, v34, v34 wave_shr:1 bound_ctrl:0
	;;#ASMEND
	;;#ASMSTART
	s_nop 0
	v_add_f32 v33, v33, v33 wave_shr:1 bound_ctrl:0
	;;#ASMEND
	;;#ASMSTART
	s_nop 0
	v_add_f32 v34, v34, v34 row_bcast:15 bound_ctrl:0
	;;#ASMEND
	;;#ASMSTART
	s_nop 0
	v_add_f32 v33, v33, v33 row_bcast:15 bound_ctrl:0
	;; [unrolled: 4-line block ×4, first 2 shown]
	;;#ASMEND
	s_and_saveexec_b64 s[6:7], s[0:1]
	s_cbranch_execz .LBB10_46
; %bb.42:                               ;   in Loop: Header=BB10_12 Depth=1
	v_cmp_ne_u32_e32 vcc, 0, v24
	s_and_saveexec_b64 s[22:23], vcc
	s_cbranch_execz .LBB10_44
; %bb.43:                               ;   in Loop: Header=BB10_12 Depth=1
	v_mov_b32_e32 v27, v29
	v_cvt_f16_f32_e32 v28, v34
	v_lshlrev_b64 v[36:37], 1, v[26:27]
	v_mov_b32_e32 v27, s17
	v_add_co_u32_e32 v34, vcc, s16, v36
	v_addc_co_u32_e32 v35, vcc, v27, v37, vcc
	global_store_short v[34:35], v28, off
.LBB10_44:                              ;   in Loop: Header=BB10_12 Depth=1
	s_or_b64 exec, exec, s[22:23]
	v_cmp_ne_u32_e32 vcc, 0, v25
	s_and_b64 exec, exec, vcc
	s_cbranch_execz .LBB10_46
; %bb.45:                               ;   in Loop: Header=BB10_12 Depth=1
	v_mov_b32_e32 v27, v29
	v_cvt_f16_f32_e32 v28, v33
	v_lshlrev_b64 v[34:35], 1, v[26:27]
	v_mov_b32_e32 v27, s37
	v_add_co_u32_e32 v34, vcc, s36, v34
	v_addc_co_u32_e32 v35, vcc, v27, v35, vcc
	global_store_short v[34:35], v28, off
.LBB10_46:                              ;   in Loop: Header=BB10_12 Depth=1
	s_or_b64 exec, exec, s[6:7]
	v_add_u32_e32 v26, s34, v26
	v_add_u32_e32 v27, 2, v26
	v_cmp_gt_u32_e32 vcc, s11, v26
	v_cmp_le_u32_e64 s[6:7], s11, v27
	s_and_b64 s[6:7], vcc, s[6:7]
	s_and_saveexec_b64 s[22:23], s[6:7]
	s_cbranch_execz .LBB10_10
; %bb.47:                               ;   in Loop: Header=BB10_12 Depth=1
	v_cmp_ne_u32_e32 vcc, s35, v26
	s_and_saveexec_b64 s[24:25], vcc
	s_cbranch_execz .LBB10_9
; %bb.48:                               ;   in Loop: Header=BB10_12 Depth=1
	v_subrev_u32_e32 v26, s35, v26
	v_cmp_lt_u32_e32 vcc, 1, v26
	v_cndmask_b32_e32 v26, 1, v26, vcc
	s_mov_b64 s[26:27], 0
	s_mov_b64 s[28:29], 0
.LBB10_49:                              ;   Parent Loop BB10_12 Depth=1
                                        ; =>  This Inner Loop Header: Depth=2
	s_cmp_lg_u32 s28, 1
	s_cselect_b64 vcc, -1, 0
	s_cmp_lg_u32 s28, 0
	v_cndmask_b32_e32 v25, 0, v25, vcc
	s_cselect_b64 vcc, -1, 0
	s_add_u32 s28, s28, 1
	s_addc_u32 s29, s29, 0
	v_cmp_eq_u32_e64 s[6:7], s28, v26
	s_or_b64 s[26:27], s[6:7], s[26:27]
	v_cndmask_b32_e32 v24, 0, v24, vcc
	s_andn2_b64 exec, exec, s[26:27]
	s_cbranch_execnz .LBB10_49
; %bb.50:                               ;   in Loop: Header=BB10_12 Depth=1
	s_or_b64 exec, exec, s[26:27]
	s_branch .LBB10_9
.LBB10_51:
	s_endpgm
	.section	.rodata,"a",@progbits
	.p2align	6, 0x0
	.amdhsa_kernel _Z16wvSplitK_hf_big_I6__halfLi64ELi2ELi16ELi8ELi2ELi1EEviiPKT_S3_PS1_ii
		.amdhsa_group_segment_fixed_size 65536
		.amdhsa_private_segment_fixed_size 0
		.amdhsa_kernarg_size 40
		.amdhsa_user_sgpr_count 6
		.amdhsa_user_sgpr_private_segment_buffer 1
		.amdhsa_user_sgpr_dispatch_ptr 0
		.amdhsa_user_sgpr_queue_ptr 0
		.amdhsa_user_sgpr_kernarg_segment_ptr 1
		.amdhsa_user_sgpr_dispatch_id 0
		.amdhsa_user_sgpr_flat_scratch_init 0
		.amdhsa_user_sgpr_kernarg_preload_length 0
		.amdhsa_user_sgpr_kernarg_preload_offset 0
		.amdhsa_user_sgpr_private_segment_size 0
		.amdhsa_uses_dynamic_stack 0
		.amdhsa_system_sgpr_private_segment_wavefront_offset 0
		.amdhsa_system_sgpr_workgroup_id_x 1
		.amdhsa_system_sgpr_workgroup_id_y 0
		.amdhsa_system_sgpr_workgroup_id_z 0
		.amdhsa_system_sgpr_workgroup_info 0
		.amdhsa_system_vgpr_workitem_id 1
		.amdhsa_next_free_vgpr 42
		.amdhsa_next_free_sgpr 42
		.amdhsa_accum_offset 44
		.amdhsa_reserve_vcc 1
		.amdhsa_reserve_flat_scratch 0
		.amdhsa_float_round_mode_32 0
		.amdhsa_float_round_mode_16_64 0
		.amdhsa_float_denorm_mode_32 3
		.amdhsa_float_denorm_mode_16_64 3
		.amdhsa_dx10_clamp 1
		.amdhsa_ieee_mode 1
		.amdhsa_fp16_overflow 0
		.amdhsa_tg_split 0
		.amdhsa_exception_fp_ieee_invalid_op 0
		.amdhsa_exception_fp_denorm_src 0
		.amdhsa_exception_fp_ieee_div_zero 0
		.amdhsa_exception_fp_ieee_overflow 0
		.amdhsa_exception_fp_ieee_underflow 0
		.amdhsa_exception_fp_ieee_inexact 0
		.amdhsa_exception_int_div_zero 0
	.end_amdhsa_kernel
	.section	.text._Z16wvSplitK_hf_big_I6__halfLi64ELi2ELi16ELi8ELi2ELi1EEviiPKT_S3_PS1_ii,"axG",@progbits,_Z16wvSplitK_hf_big_I6__halfLi64ELi2ELi16ELi8ELi2ELi1EEviiPKT_S3_PS1_ii,comdat
.Lfunc_end10:
	.size	_Z16wvSplitK_hf_big_I6__halfLi64ELi2ELi16ELi8ELi2ELi1EEviiPKT_S3_PS1_ii, .Lfunc_end10-_Z16wvSplitK_hf_big_I6__halfLi64ELi2ELi16ELi8ELi2ELi1EEviiPKT_S3_PS1_ii
                                        ; -- End function
	.section	.AMDGPU.csdata,"",@progbits
; Kernel info:
; codeLenInByte = 1768
; NumSgprs: 46
; NumVgprs: 42
; NumAgprs: 0
; TotalNumVgprs: 42
; ScratchSize: 0
; MemoryBound: 0
; FloatMode: 240
; IeeeMode: 1
; LDSByteSize: 65536 bytes/workgroup (compile time only)
; SGPRBlocks: 5
; VGPRBlocks: 5
; NumSGPRsForWavesPerEU: 46
; NumVGPRsForWavesPerEU: 42
; AccumOffset: 44
; Occupancy: 4
; WaveLimiterHint : 0
; COMPUTE_PGM_RSRC2:SCRATCH_EN: 0
; COMPUTE_PGM_RSRC2:USER_SGPR: 6
; COMPUTE_PGM_RSRC2:TRAP_HANDLER: 0
; COMPUTE_PGM_RSRC2:TGID_X_EN: 1
; COMPUTE_PGM_RSRC2:TGID_Y_EN: 0
; COMPUTE_PGM_RSRC2:TGID_Z_EN: 0
; COMPUTE_PGM_RSRC2:TIDIG_COMP_CNT: 1
; COMPUTE_PGM_RSRC3_GFX90A:ACCUM_OFFSET: 10
; COMPUTE_PGM_RSRC3_GFX90A:TG_SPLIT: 0
	.section	.text._Z16wvSplitK_hf_sml_I6__halfLi64ELi2ELi16ELi8ELi2ELi2EEviiPKT_S3_PS1_ii,"axG",@progbits,_Z16wvSplitK_hf_sml_I6__halfLi64ELi2ELi16ELi8ELi2ELi2EEviiPKT_S3_PS1_ii,comdat
	.protected	_Z16wvSplitK_hf_sml_I6__halfLi64ELi2ELi16ELi8ELi2ELi2EEviiPKT_S3_PS1_ii ; -- Begin function _Z16wvSplitK_hf_sml_I6__halfLi64ELi2ELi16ELi8ELi2ELi2EEviiPKT_S3_PS1_ii
	.globl	_Z16wvSplitK_hf_sml_I6__halfLi64ELi2ELi16ELi8ELi2ELi2EEviiPKT_S3_PS1_ii
	.p2align	8
	.type	_Z16wvSplitK_hf_sml_I6__halfLi64ELi2ELi16ELi8ELi2ELi2EEviiPKT_S3_PS1_ii,@function
_Z16wvSplitK_hf_sml_I6__halfLi64ELi2ELi16ELi8ELi2ELi2EEviiPKT_S3_PS1_ii: ; @_Z16wvSplitK_hf_sml_I6__halfLi64ELi2ELi16ELi8ELi2ELi2EEviiPKT_S3_PS1_ii
; %bb.0:
	s_load_dwordx2 s[8:9], s[4:5], 0x0
	v_and_b32_e32 v2, 0x3ff, v0
	v_bfe_u32 v3, v0, 10, 10
	v_lshlrev_b32_e32 v36, 3, v2
	s_mov_b32 s7, 0
	s_waitcnt lgkmcnt(0)
	s_lshl_b32 s20, s8, 1
	s_cmp_lg_u32 s8, 0
	s_cselect_b64 s[2:3], -1, 0
	s_cmp_eq_u32 s8, 0
	s_cbranch_scc1 .LBB11_6
; %bb.1:
	s_load_dwordx2 s[0:1], s[4:5], 0x10
	v_lshlrev_b32_e32 v0, 4, v2
	s_min_i32 s16, s20, 0x8000
	v_lshl_add_u32 v4, v3, 10, v0
	v_lshl_add_u32 v5, v3, 9, v36
	s_mov_b64 s[10:11], 0
	v_mov_b32_e32 v1, 0
                                        ; implicit-def: $sgpr12_sgpr13
	s_branch .LBB11_3
.LBB11_2:                               ;   in Loop: Header=BB11_3 Depth=1
	s_or_b64 exec, exec, s[14:15]
	s_and_b64 s[14:15], exec, s[12:13]
	s_or_b64 s[10:11], s[14:15], s[10:11]
	s_andn2_b64 exec, exec, s[10:11]
	s_cbranch_execz .LBB11_5
.LBB11_3:                               ; =>This Inner Loop Header: Depth=1
	v_add_u32_e32 v0, s7, v5
	v_cmp_gt_u32_e32 vcc, s16, v0
	s_or_b64 s[12:13], s[12:13], exec
	s_and_saveexec_b64 s[14:15], vcc
	s_cbranch_execz .LBB11_2
; %bb.4:                                ;   in Loop: Header=BB11_3 Depth=1
	v_lshlrev_b64 v[6:7], 1, v[0:1]
	s_waitcnt lgkmcnt(0)
	v_mov_b32_e32 v0, s1
	v_add_co_u32_e32 v6, vcc, s0, v6
	v_addc_co_u32_e32 v7, vcc, v0, v7, vcc
	global_load_dwordx4 v[6:9], v[6:7], off
	s_addk_i32 s7, 0x2000
	s_cmp_ge_u32 s7, s16
	s_cselect_b64 s[18:19], -1, 0
	s_andn2_b64 s[12:13], s[12:13], exec
	s_and_b64 s[18:19], s[18:19], exec
	s_or_b64 s[12:13], s[12:13], s[18:19]
	s_waitcnt vmcnt(0)
	ds_write_b128 v4, v[6:9]
	v_add_u32_e32 v4, 0x4000, v4
	s_branch .LBB11_2
.LBB11_5:
	s_or_b64 exec, exec, s[10:11]
.LBB11_6:
	s_waitcnt lgkmcnt(0)
	s_load_dwordx2 s[0:1], s[4:5], 0x20
	s_waitcnt lgkmcnt(0)
	s_barrier
	v_cmp_gt_u32_e32 vcc, s0, v3
	s_and_saveexec_b64 s[10:11], vcc
	s_cbranch_execz .LBB11_28
; %bb.7:
	s_mul_i32 s6, s6, s0
	v_add_u32_e32 v0, s6, v3
	v_lshlrev_b32_e32 v32, 1, v0
	v_cmp_gt_u32_e32 vcc, s9, v32
	s_and_b64 exec, exec, vcc
	s_cbranch_execz .LBB11_28
; %bb.8:
	s_load_dwordx2 s[6:7], s[4:5], 0x8
	s_load_dwordx2 s[10:11], s[4:5], 0x18
	s_mul_i32 s12, s0, s1
	v_mul_lo_u32 v0, s8, v0
	s_lshl_b32 s21, s12, 1
	s_ashr_i32 s5, s8, 31
	s_mov_b32 s4, s8
	v_lshl_add_u32 v38, v0, 1, v36
	s_mul_i32 s12, s12, s8
	v_cndmask_b32_e64 v0, 0, 1, s[2:3]
	v_cmp_eq_u32_e64 s[0:1], 63, v2
	v_lshlrev_b32_e32 v37, 4, v2
	s_lshl_b32 s22, s12, 1
	s_mov_b64 s[12:13], 0
	v_cmp_ne_u32_e64 s[2:3], 1, v0
	v_mov_b32_e32 v35, 0
	s_lshl_b64 s[14:15], s[4:5], 1
                                        ; implicit-def: $vgpr20_vgpr21_vgpr22_vgpr23
                                        ; implicit-def: $vgpr28_vgpr29_vgpr30_vgpr31
                                        ; implicit-def: $vgpr16_vgpr17_vgpr18_vgpr19
                                        ; implicit-def: $vgpr24_vgpr25_vgpr26_vgpr27
                                        ; implicit-def: $vgpr14_vgpr15
                                        ; implicit-def: $vgpr2_vgpr3
                                        ; implicit-def: $vgpr6_vgpr7
                                        ; implicit-def: $vgpr10_vgpr11
	s_branch .LBB11_10
.LBB11_9:                               ;   in Loop: Header=BB11_10 Depth=1
	s_or_b64 exec, exec, s[4:5]
	v_add_u32_e32 v32, s21, v32
	v_cmp_le_u32_e32 vcc, s9, v32
	s_or_b64 s[12:13], vcc, s[12:13]
	v_add_u32_e32 v38, s22, v38
	s_andn2_b64 exec, exec, s[12:13]
	s_cbranch_execz .LBB11_28
.LBB11_10:                              ; =>This Loop Header: Depth=1
                                        ;     Child Loop BB11_14 Depth 2
	s_and_b64 vcc, exec, s[2:3]
	s_mov_b32 s23, 0
	s_cbranch_vccnz .LBB11_25
; %bb.11:                               ;   in Loop: Header=BB11_10 Depth=1
	v_mov_b32_e32 v39, 0
	v_mov_b32_e32 v42, v37
	;; [unrolled: 1-line block ×5, first 2 shown]
	s_branch .LBB11_14
.LBB11_12:                              ;   in Loop: Header=BB11_14 Depth=2
	s_or_b64 exec, exec, s[16:17]
.LBB11_13:                              ;   in Loop: Header=BB11_14 Depth=2
	s_or_b64 exec, exec, s[4:5]
	s_addk_i32 s23, 0x400
	s_cmp_ge_u32 s23, s8
	v_add_u32_e32 v42, 0x800, v42
	s_cbranch_scc1 .LBB11_26
.LBB11_14:                              ;   Parent Loop BB11_10 Depth=1
                                        ; =>  This Inner Loop Header: Depth=2
	v_add_u32_e32 v34, s23, v36
	v_cmp_gt_u32_e32 vcc, s8, v34
	v_add_u32_e32 v43, 0x200, v34
	s_and_saveexec_b64 s[16:17], vcc
	s_cbranch_execnz .LBB11_17
; %bb.15:                               ;   in Loop: Header=BB11_14 Depth=2
	s_or_b64 exec, exec, s[16:17]
	s_and_saveexec_b64 s[16:17], vcc
	s_cbranch_execnz .LBB11_20
.LBB11_16:                              ;   in Loop: Header=BB11_14 Depth=2
	s_or_b64 exec, exec, s[16:17]
	s_and_saveexec_b64 s[4:5], vcc
	s_cbranch_execz .LBB11_13
	s_branch .LBB11_23
.LBB11_17:                              ;   in Loop: Header=BB11_14 Depth=2
	v_add_u32_e32 v34, s23, v38
	s_waitcnt vmcnt(1)
	v_lshlrev_b64 v[24:25], 1, v[34:35]
	s_waitcnt lgkmcnt(0)
	v_mov_b32_e32 v26, s7
	v_add_co_u32_e64 v44, s[4:5], s6, v24
	v_addc_co_u32_e64 v45, s[4:5], v26, v25, s[4:5]
	v_mov_b32_e32 v24, s15
	v_add_co_u32_e64 v46, s[4:5], s14, v44
	v_addc_co_u32_e64 v47, s[4:5], v45, v24, s[4:5]
	global_load_dwordx4 v[24:27], v[44:45], off glc slc
	global_load_dwordx4 v[28:31], v[46:47], off glc slc
	v_cmp_gt_u32_e64 s[4:5], s8, v43
	s_and_saveexec_b64 s[18:19], s[4:5]
	s_cbranch_execz .LBB11_19
; %bb.18:                               ;   in Loop: Header=BB11_14 Depth=2
	v_add_u32_e32 v34, 0x200, v34
	v_lshlrev_b64 v[16:17], 1, v[34:35]
	v_mov_b32_e32 v18, s7
	v_add_co_u32_e64 v44, s[4:5], s6, v16
	v_addc_co_u32_e64 v45, s[4:5], v18, v17, s[4:5]
	v_mov_b32_e32 v16, s15
	v_add_co_u32_e64 v46, s[4:5], s14, v44
	v_addc_co_u32_e64 v47, s[4:5], v45, v16, s[4:5]
	global_load_dwordx4 v[16:19], v[44:45], off glc slc
	global_load_dwordx4 v[20:23], v[46:47], off glc slc
.LBB11_19:                              ;   in Loop: Header=BB11_14 Depth=2
	s_or_b64 exec, exec, s[18:19]
	s_or_b64 exec, exec, s[16:17]
	s_and_saveexec_b64 s[16:17], vcc
	s_cbranch_execz .LBB11_16
.LBB11_20:                              ;   in Loop: Header=BB11_14 Depth=2
	v_add_u32_e32 v34, s20, v42
	s_waitcnt lgkmcnt(0)
	ds_read_b128 v[8:11], v42
	ds_read_b128 v[4:7], v34
	v_cmp_gt_u32_e64 s[4:5], s8, v43
	s_and_saveexec_b64 s[18:19], s[4:5]
	s_cbranch_execz .LBB11_22
; %bb.21:                               ;   in Loop: Header=BB11_14 Depth=2
	ds_read_b128 v[0:3], v42 offset:1024
	ds_read_b128 v[12:15], v34 offset:1024
.LBB11_22:                              ;   in Loop: Header=BB11_14 Depth=2
	s_or_b64 exec, exec, s[18:19]
	s_or_b64 exec, exec, s[16:17]
	s_and_saveexec_b64 s[4:5], vcc
	s_cbranch_execz .LBB11_13
.LBB11_23:                              ;   in Loop: Header=BB11_14 Depth=2
	s_waitcnt vmcnt(1) lgkmcnt(0)
	;;#ASMSTART
	v_dot2c_f32_f16 v33, v8, v24
	;;#ASMEND
	s_waitcnt vmcnt(0)
	;;#ASMSTART
	v_dot2c_f32_f16 v41, v8, v28
	;;#ASMEND
	;;#ASMSTART
	v_dot2c_f32_f16 v40, v4, v24
	;;#ASMEND
	;; [unrolled: 3-line block ×11, first 2 shown]
	v_cmp_gt_u32_e32 vcc, s8, v43
	;;#ASMSTART
	v_dot2c_f32_f16 v33, v11, v27
	;;#ASMEND
	;;#ASMSTART
	v_dot2c_f32_f16 v41, v11, v31
	;;#ASMEND
	;; [unrolled: 3-line block ×4, first 2 shown]
	s_and_saveexec_b64 s[16:17], vcc
	s_cbranch_execz .LBB11_12
; %bb.24:                               ;   in Loop: Header=BB11_14 Depth=2
	;;#ASMSTART
	v_dot2c_f32_f16 v33, v0, v16
	;;#ASMEND
	;;#ASMSTART
	v_dot2c_f32_f16 v41, v0, v20
	;;#ASMEND
	;; [unrolled: 3-line block ×16, first 2 shown]
	s_branch .LBB11_12
.LBB11_25:                              ;   in Loop: Header=BB11_10 Depth=1
	v_mov_b32_e32 v33, v35
	v_mov_b32_e32 v41, v35
	;; [unrolled: 1-line block ×4, first 2 shown]
.LBB11_26:                              ;   in Loop: Header=BB11_10 Depth=1
	;;#ASMSTART
	s_nop 0
	v_add_f32 v33, v33, v33 row_shr:8 bound_ctrl:0 
	;;#ASMEND
	;;#ASMSTART
	s_nop 0
	v_add_f32 v41, v41, v41 row_shr:8 bound_ctrl:0 
	;;#ASMEND
	;; [unrolled: 4-line block ×12, first 2 shown]
	;;#ASMSTART
	s_nop 0
	v_add_f32 v33, v33, v33 wave_shr:1 bound_ctrl:0
	;;#ASMEND
	;;#ASMSTART
	s_nop 0
	v_add_f32 v41, v41, v41 wave_shr:1 bound_ctrl:0
	;;#ASMEND
	;; [unrolled: 4-line block ×4, first 2 shown]
	;;#ASMSTART
	s_nop 0
	v_add_f32 v33, v33, v33 row_bcast:15 bound_ctrl:0
	;;#ASMEND
	;;#ASMSTART
	s_nop 0
	v_add_f32 v41, v41, v41 row_bcast:15 bound_ctrl:0
	;;#ASMEND
	;; [unrolled: 4-line block ×8, first 2 shown]
	s_and_saveexec_b64 s[4:5], s[0:1]
	s_cbranch_execz .LBB11_9
; %bb.27:                               ;   in Loop: Header=BB11_10 Depth=1
	v_cvt_f16_f32_e32 v34, v33
	v_cvt_f16_f32_e32 v41, v41
	v_mov_b32_e32 v33, v35
	v_lshlrev_b64 v[42:43], 1, v[32:33]
	s_waitcnt lgkmcnt(0)
	v_mov_b32_e32 v33, s11
	v_add_co_u32_e32 v42, vcc, s10, v42
	v_addc_co_u32_e32 v43, vcc, v33, v43, vcc
	v_pack_b32_f16 v34, v34, v41
	global_store_dword v[42:43], v34, off
	v_add_u32_e32 v34, s9, v32
	v_cvt_f16_f32_e32 v42, v40
	v_lshlrev_b64 v[40:41], 1, v[34:35]
	v_add_co_u32_e32 v40, vcc, s10, v40
	v_addc_co_u32_e32 v41, vcc, v33, v41, vcc
	v_cvt_f16_f32_e32 v39, v39
	v_add_u32_e32 v34, 1, v34
	global_store_short v[40:41], v42, off
	v_lshlrev_b64 v[40:41], 1, v[34:35]
	v_add_co_u32_e32 v40, vcc, s10, v40
	v_addc_co_u32_e32 v41, vcc, v33, v41, vcc
	global_store_short v[40:41], v39, off
	s_branch .LBB11_9
.LBB11_28:
	s_endpgm
	.section	.rodata,"a",@progbits
	.p2align	6, 0x0
	.amdhsa_kernel _Z16wvSplitK_hf_sml_I6__halfLi64ELi2ELi16ELi8ELi2ELi2EEviiPKT_S3_PS1_ii
		.amdhsa_group_segment_fixed_size 65536
		.amdhsa_private_segment_fixed_size 0
		.amdhsa_kernarg_size 40
		.amdhsa_user_sgpr_count 6
		.amdhsa_user_sgpr_private_segment_buffer 1
		.amdhsa_user_sgpr_dispatch_ptr 0
		.amdhsa_user_sgpr_queue_ptr 0
		.amdhsa_user_sgpr_kernarg_segment_ptr 1
		.amdhsa_user_sgpr_dispatch_id 0
		.amdhsa_user_sgpr_flat_scratch_init 0
		.amdhsa_user_sgpr_kernarg_preload_length 0
		.amdhsa_user_sgpr_kernarg_preload_offset 0
		.amdhsa_user_sgpr_private_segment_size 0
		.amdhsa_uses_dynamic_stack 0
		.amdhsa_system_sgpr_private_segment_wavefront_offset 0
		.amdhsa_system_sgpr_workgroup_id_x 1
		.amdhsa_system_sgpr_workgroup_id_y 0
		.amdhsa_system_sgpr_workgroup_id_z 0
		.amdhsa_system_sgpr_workgroup_info 0
		.amdhsa_system_vgpr_workitem_id 1
		.amdhsa_next_free_vgpr 48
		.amdhsa_next_free_sgpr 24
		.amdhsa_accum_offset 48
		.amdhsa_reserve_vcc 1
		.amdhsa_reserve_flat_scratch 0
		.amdhsa_float_round_mode_32 0
		.amdhsa_float_round_mode_16_64 0
		.amdhsa_float_denorm_mode_32 3
		.amdhsa_float_denorm_mode_16_64 3
		.amdhsa_dx10_clamp 1
		.amdhsa_ieee_mode 1
		.amdhsa_fp16_overflow 0
		.amdhsa_tg_split 0
		.amdhsa_exception_fp_ieee_invalid_op 0
		.amdhsa_exception_fp_denorm_src 0
		.amdhsa_exception_fp_ieee_div_zero 0
		.amdhsa_exception_fp_ieee_overflow 0
		.amdhsa_exception_fp_ieee_underflow 0
		.amdhsa_exception_fp_ieee_inexact 0
		.amdhsa_exception_int_div_zero 0
	.end_amdhsa_kernel
	.section	.text._Z16wvSplitK_hf_sml_I6__halfLi64ELi2ELi16ELi8ELi2ELi2EEviiPKT_S3_PS1_ii,"axG",@progbits,_Z16wvSplitK_hf_sml_I6__halfLi64ELi2ELi16ELi8ELi2ELi2EEviiPKT_S3_PS1_ii,comdat
.Lfunc_end11:
	.size	_Z16wvSplitK_hf_sml_I6__halfLi64ELi2ELi16ELi8ELi2ELi2EEviiPKT_S3_PS1_ii, .Lfunc_end11-_Z16wvSplitK_hf_sml_I6__halfLi64ELi2ELi16ELi8ELi2ELi2EEviiPKT_S3_PS1_ii
                                        ; -- End function
	.section	.AMDGPU.csdata,"",@progbits
; Kernel info:
; codeLenInByte = 1592
; NumSgprs: 28
; NumVgprs: 48
; NumAgprs: 0
; TotalNumVgprs: 48
; ScratchSize: 0
; MemoryBound: 0
; FloatMode: 240
; IeeeMode: 1
; LDSByteSize: 65536 bytes/workgroup (compile time only)
; SGPRBlocks: 3
; VGPRBlocks: 5
; NumSGPRsForWavesPerEU: 28
; NumVGPRsForWavesPerEU: 48
; AccumOffset: 48
; Occupancy: 4
; WaveLimiterHint : 0
; COMPUTE_PGM_RSRC2:SCRATCH_EN: 0
; COMPUTE_PGM_RSRC2:USER_SGPR: 6
; COMPUTE_PGM_RSRC2:TRAP_HANDLER: 0
; COMPUTE_PGM_RSRC2:TGID_X_EN: 1
; COMPUTE_PGM_RSRC2:TGID_Y_EN: 0
; COMPUTE_PGM_RSRC2:TGID_Z_EN: 0
; COMPUTE_PGM_RSRC2:TIDIG_COMP_CNT: 1
; COMPUTE_PGM_RSRC3_GFX90A:ACCUM_OFFSET: 11
; COMPUTE_PGM_RSRC3_GFX90A:TG_SPLIT: 0
	.section	.text._Z12wvSplitK_hf_I6__halfLi64ELi2ELi16ELi8ELi2ELi2EEviiPKT_S3_PS1_ii,"axG",@progbits,_Z12wvSplitK_hf_I6__halfLi64ELi2ELi16ELi8ELi2ELi2EEviiPKT_S3_PS1_ii,comdat
	.protected	_Z12wvSplitK_hf_I6__halfLi64ELi2ELi16ELi8ELi2ELi2EEviiPKT_S3_PS1_ii ; -- Begin function _Z12wvSplitK_hf_I6__halfLi64ELi2ELi16ELi8ELi2ELi2EEviiPKT_S3_PS1_ii
	.globl	_Z12wvSplitK_hf_I6__halfLi64ELi2ELi16ELi8ELi2ELi2EEviiPKT_S3_PS1_ii
	.p2align	8
	.type	_Z12wvSplitK_hf_I6__halfLi64ELi2ELi16ELi8ELi2ELi2EEviiPKT_S3_PS1_ii,@function
_Z12wvSplitK_hf_I6__halfLi64ELi2ELi16ELi8ELi2ELi2EEviiPKT_S3_PS1_ii: ; @_Z12wvSplitK_hf_I6__halfLi64ELi2ELi16ELi8ELi2ELi2EEviiPKT_S3_PS1_ii
; %bb.0:
	s_load_dwordx2 s[2:3], s[4:5], 0x20
	s_load_dwordx2 s[8:9], s[4:5], 0x0
	;; [unrolled: 1-line block ×3, first 2 shown]
	v_bfe_u32 v3, v0, 10, 10
	s_waitcnt lgkmcnt(0)
	s_mul_i32 s0, s6, s2
	v_add_lshl_u32 v34, s0, v3, 1
	s_mov_b32 s6, 1
	v_add_u32_e32 v1, 2, v34
	v_cmp_gt_u32_e32 vcc, s9, v34
	v_cmp_le_u32_e64 s[0:1], s9, v1
	s_mov_b32 s7, s6
	s_and_b64 s[12:13], vcc, s[0:1]
	v_pk_mov_b32 v[32:33], s[6:7], s[6:7] op_sel:[0,1]
	s_and_saveexec_b64 s[0:1], s[12:13]
	s_cbranch_execz .LBB12_6
; %bb.1:
	s_add_i32 s18, s9, -2
	v_cmp_ne_u32_e32 vcc, s18, v34
	v_pk_mov_b32 v[32:33], s[6:7], s[6:7] op_sel:[0,1]
	s_and_saveexec_b64 s[6:7], vcc
	s_cbranch_execz .LBB12_5
; %bb.2:
	v_subrev_u32_e32 v1, s18, v34
	s_mov_b32 s12, 1
	v_cmp_lt_u32_e32 vcc, 1, v1
	v_cndmask_b32_e32 v2, 1, v1, vcc
	s_mov_b64 s[14:15], 0
	s_mov_b64 s[16:17], 0
	s_mov_b32 s13, s12
.LBB12_3:                               ; =>This Inner Loop Header: Depth=1
	s_cmp_lg_u32 s16, 1
	s_cselect_b32 s13, s13, 0
	s_cmp_lg_u32 s16, 0
	s_cselect_b32 s12, s12, 0
	s_add_u32 s16, s16, 1
	s_addc_u32 s17, s17, 0
	v_cmp_eq_u32_e32 vcc, s16, v2
	s_or_b64 s[14:15], vcc, s[14:15]
	v_pk_mov_b32 v[32:33], s[12:13], s[12:13] op_sel:[0,1]
	s_andn2_b64 exec, exec, s[14:15]
	s_cbranch_execnz .LBB12_3
; %bb.4:
	s_or_b64 exec, exec, s[14:15]
	v_mov_b32_e32 v34, s18
.LBB12_5:
	s_or_b64 exec, exec, s[6:7]
.LBB12_6:
	s_or_b64 exec, exec, s[0:1]
	s_lshl_b32 s26, s8, 1
	v_and_b32_e32 v2, 0x3ff, v0
	s_cmp_lg_u32 s8, 0
	v_lshlrev_b32_e32 v36, 3, v2
	s_mov_b32 s16, 0
	s_cselect_b64 s[6:7], -1, 0
	s_cmp_eq_u32 s8, 0
	v_lshlrev_b32_e32 v37, 4, v2
	s_cbranch_scc1 .LBB12_12
; %bb.7:
	v_lshlrev_b32_e32 v0, 4, v2
	s_min_i32 s17, s26, 0x8000
	v_lshl_add_u32 v4, v3, 10, v0
	v_lshl_add_u32 v5, v3, 9, v36
	s_mov_b64 s[0:1], 0
	v_mov_b32_e32 v1, 0
                                        ; implicit-def: $sgpr12_sgpr13
	s_branch .LBB12_9
.LBB12_8:                               ;   in Loop: Header=BB12_9 Depth=1
	s_or_b64 exec, exec, s[14:15]
	s_and_b64 s[14:15], exec, s[12:13]
	s_or_b64 s[0:1], s[14:15], s[0:1]
	s_andn2_b64 exec, exec, s[0:1]
	s_cbranch_execz .LBB12_11
.LBB12_9:                               ; =>This Inner Loop Header: Depth=1
	v_add_u32_e32 v0, s16, v5
	v_cmp_gt_u32_e32 vcc, s17, v0
	s_or_b64 s[12:13], s[12:13], exec
	s_and_saveexec_b64 s[14:15], vcc
	s_cbranch_execz .LBB12_8
; %bb.10:                               ;   in Loop: Header=BB12_9 Depth=1
	v_lshlrev_b64 v[6:7], 1, v[0:1]
	v_mov_b32_e32 v0, s11
	v_add_co_u32_e32 v6, vcc, s10, v6
	v_addc_co_u32_e32 v7, vcc, v0, v7, vcc
	global_load_dwordx4 v[6:9], v[6:7], off
	s_addk_i32 s16, 0x2000
	s_cmp_ge_u32 s16, s17
	s_cselect_b64 s[18:19], -1, 0
	s_andn2_b64 s[12:13], s[12:13], exec
	s_and_b64 s[18:19], s[18:19], exec
	s_or_b64 s[12:13], s[12:13], s[18:19]
	s_waitcnt vmcnt(0)
	ds_write_b128 v4, v[6:9]
	v_add_u32_e32 v4, 0x4000, v4
	s_branch .LBB12_8
.LBB12_11:
	s_or_b64 exec, exec, s[0:1]
.LBB12_12:
	v_cmp_gt_u32_e32 vcc, s2, v3
	v_cmp_gt_u32_e64 s[0:1], s9, v34
	s_and_b64 s[0:1], vcc, s[0:1]
	s_waitcnt lgkmcnt(0)
	s_barrier
	s_and_saveexec_b64 s[12:13], s[0:1]
	s_cbranch_execz .LBB12_66
; %bb.13:
	s_load_dwordx2 s[12:13], s[4:5], 0x8
	s_load_dwordx2 s[14:15], s[4:5], 0x18
	s_mul_i32 s2, s2, s3
	s_ashr_i32 s5, s8, 31
	s_mov_b32 s4, s8
	v_cndmask_b32_e64 v0, 0, 1, s[6:7]
	v_cmp_eq_u32_e64 s[0:1], 63, v2
	s_lshl_b32 s27, s2, 1
	s_add_i32 s28, s9, -2
	v_add_u32_e32 v46, s8, v36
	s_mov_b64 s[16:17], 0
	v_cmp_ne_u32_e64 s[2:3], 1, v0
	v_mov_b32_e32 v39, 0
	s_lshl_b64 s[18:19], s[4:5], 1
	s_movk_i32 s29, 0x7fff
                                        ; implicit-def: $vgpr4_vgpr5_vgpr6_vgpr7
                                        ; implicit-def: $vgpr16_vgpr17_vgpr18_vgpr19
                                        ; implicit-def: $vgpr0_vgpr1_vgpr2_vgpr3
                                        ; implicit-def: $vgpr8_vgpr9_vgpr10_vgpr11
                                        ; implicit-def: $vgpr14_vgpr15
                                        ; implicit-def: $vgpr26_vgpr27
                                        ; implicit-def: $vgpr22_vgpr23
                                        ; implicit-def: $vgpr30_vgpr31
	s_branch .LBB12_16
.LBB12_14:                              ;   in Loop: Header=BB12_16 Depth=1
	s_or_b64 exec, exec, s[20:21]
	v_mov_b32_e32 v34, s28
.LBB12_15:                              ;   in Loop: Header=BB12_16 Depth=1
	s_or_b64 exec, exec, s[6:7]
	v_cmp_le_u32_e32 vcc, s9, v34
	s_or_b64 s[16:17], vcc, s[16:17]
	s_andn2_b64 exec, exec, s[16:17]
	s_cbranch_execz .LBB12_66
.LBB12_16:                              ; =>This Loop Header: Depth=1
                                        ;     Child Loop BB12_20 Depth 2
                                        ;     Child Loop BB12_61 Depth 2
	s_and_b64 vcc, exec, s[2:3]
	s_mov_b32 s24, 0
	s_cbranch_vccnz .LBB12_51
; %bb.17:                               ;   in Loop: Header=BB12_16 Depth=1
	v_mad_u64_u32 v[40:41], s[4:5], v34, s8, v[36:37]
	v_mov_b32_e32 v41, 0
	v_mov_b32_e32 v49, v37
	;; [unrolled: 1-line block ×5, first 2 shown]
	s_branch .LBB12_20
.LBB12_18:                              ;   in Loop: Header=BB12_20 Depth=2
	s_or_b64 exec, exec, s[6:7]
.LBB12_19:                              ;   in Loop: Header=BB12_20 Depth=2
	s_or_b64 exec, exec, s[4:5]
	s_addk_i32 s24, 0x400
	s_cmp_ge_u32 s24, s8
	v_add_u32_e32 v49, 0x800, v49
	s_cbranch_scc1 .LBB12_52
.LBB12_20:                              ;   Parent Loop BB12_16 Depth=1
                                        ; =>  This Inner Loop Header: Depth=2
	v_add_u32_e32 v44, s24, v36
	v_cmp_gt_u32_e32 vcc, s8, v44
	v_add_u32_e32 v42, 0x200, v44
	s_and_saveexec_b64 s[6:7], vcc
	s_cbranch_execnz .LBB12_24
; %bb.21:                               ;   in Loop: Header=BB12_20 Depth=2
	s_or_b64 exec, exec, s[6:7]
	s_and_saveexec_b64 s[6:7], vcc
	s_cbranch_execnz .LBB12_27
.LBB12_22:                              ;   in Loop: Header=BB12_20 Depth=2
	s_or_b64 exec, exec, s[6:7]
	s_and_saveexec_b64 s[6:7], vcc
	s_cbranch_execnz .LBB12_46
.LBB12_23:                              ;   in Loop: Header=BB12_20 Depth=2
	s_or_b64 exec, exec, s[6:7]
	s_and_saveexec_b64 s[4:5], vcc
	s_cbranch_execz .LBB12_19
	s_branch .LBB12_49
.LBB12_24:                              ;   in Loop: Header=BB12_20 Depth=2
	v_add_u32_e32 v38, s24, v40
	s_waitcnt vmcnt(1)
	v_lshlrev_b64 v[8:9], 1, v[38:39]
	s_waitcnt lgkmcnt(0)
	v_mov_b32_e32 v10, s13
	v_add_co_u32_e64 v50, s[4:5], s12, v8
	v_addc_co_u32_e64 v51, s[4:5], v10, v9, s[4:5]
	v_mov_b32_e32 v8, s19
	v_add_co_u32_e64 v52, s[4:5], s18, v50
	v_addc_co_u32_e64 v53, s[4:5], v51, v8, s[4:5]
	global_load_dwordx4 v[8:11], v[50:51], off glc slc
	global_load_dwordx4 v[16:19], v[52:53], off glc slc
	v_cmp_gt_u32_e64 s[4:5], s8, v42
	s_and_saveexec_b64 s[20:21], s[4:5]
	s_cbranch_execz .LBB12_26
; %bb.25:                               ;   in Loop: Header=BB12_20 Depth=2
	v_add_u32_e32 v38, 0x200, v38
	v_lshlrev_b64 v[0:1], 1, v[38:39]
	v_mov_b32_e32 v2, s13
	v_add_co_u32_e64 v50, s[4:5], s12, v0
	v_addc_co_u32_e64 v51, s[4:5], v2, v1, s[4:5]
	v_mov_b32_e32 v0, s19
	v_add_co_u32_e64 v52, s[4:5], s18, v50
	v_addc_co_u32_e64 v53, s[4:5], v51, v0, s[4:5]
	global_load_dwordx4 v[0:3], v[50:51], off glc slc
	global_load_dwordx4 v[4:7], v[52:53], off glc slc
.LBB12_26:                              ;   in Loop: Header=BB12_20 Depth=2
	s_or_b64 exec, exec, s[20:21]
	s_or_b64 exec, exec, s[6:7]
	s_and_saveexec_b64 s[6:7], vcc
	s_cbranch_execz .LBB12_22
.LBB12_27:                              ;   in Loop: Header=BB12_20 Depth=2
	v_cmp_lt_u32_e64 s[4:5], s29, v44
                                        ; implicit-def: $vgpr12_vgpr13
	s_and_saveexec_b64 s[20:21], s[4:5]
	s_xor_b64 s[20:21], exec, s[20:21]
	s_cbranch_execz .LBB12_29
; %bb.28:                               ;   in Loop: Header=BB12_20 Depth=2
	v_mov_b32_e32 v45, v39
	s_waitcnt vmcnt(0) lgkmcnt(0)
	v_lshlrev_b64 v[12:13], 1, v[44:45]
	v_mov_b32_e32 v14, s11
	v_add_co_u32_e64 v12, s[4:5], s10, v12
	v_addc_co_u32_e64 v13, s[4:5], v14, v13, s[4:5]
	global_load_dwordx4 v[12:15], v[12:13], off
.LBB12_29:                              ;   in Loop: Header=BB12_20 Depth=2
	s_andn2_saveexec_b64 s[4:5], s[20:21]
	s_cbranch_execz .LBB12_31
; %bb.30:                               ;   in Loop: Header=BB12_20 Depth=2
	s_waitcnt vmcnt(0) lgkmcnt(0)
	ds_read_b128 v[12:15], v49
.LBB12_31:                              ;   in Loop: Header=BB12_20 Depth=2
	s_or_b64 exec, exec, s[4:5]
	v_add_u32_e32 v38, s24, v46
	v_cmp_lt_u32_e64 s[4:5], s29, v38
                                        ; implicit-def: $vgpr24_vgpr25
	s_and_saveexec_b64 s[20:21], s[4:5]
	s_xor_b64 s[20:21], exec, s[20:21]
	s_cbranch_execnz .LBB12_34
; %bb.32:                               ;   in Loop: Header=BB12_20 Depth=2
	s_andn2_saveexec_b64 s[4:5], s[20:21]
	s_cbranch_execnz .LBB12_35
.LBB12_33:                              ;   in Loop: Header=BB12_20 Depth=2
	s_or_b64 exec, exec, s[4:5]
	v_cmp_gt_u32_e64 s[4:5], s8, v42
	s_and_saveexec_b64 s[20:21], s[4:5]
	s_cbranch_execnz .LBB12_36
	s_branch .LBB12_45
.LBB12_34:                              ;   in Loop: Header=BB12_20 Depth=2
	s_waitcnt vmcnt(0) lgkmcnt(0)
	v_lshlrev_b64 v[24:25], 1, v[38:39]
	v_mov_b32_e32 v26, s11
	v_add_co_u32_e64 v24, s[4:5], s10, v24
	v_addc_co_u32_e64 v25, s[4:5], v26, v25, s[4:5]
	global_load_dwordx4 v[24:27], v[24:25], off
	s_andn2_saveexec_b64 s[4:5], s[20:21]
	s_cbranch_execz .LBB12_33
.LBB12_35:                              ;   in Loop: Header=BB12_20 Depth=2
	s_waitcnt vmcnt(0) lgkmcnt(0)
	v_add_u32_e32 v24, s26, v49
	ds_read_b128 v[24:27], v24
	s_or_b64 exec, exec, s[4:5]
	v_cmp_gt_u32_e64 s[4:5], s8, v42
	s_and_saveexec_b64 s[20:21], s[4:5]
	s_cbranch_execz .LBB12_45
.LBB12_36:                              ;   in Loop: Header=BB12_20 Depth=2
	v_cmp_lt_u32_e64 s[4:5], s29, v42
                                        ; implicit-def: $vgpr20_vgpr21
	s_and_saveexec_b64 s[22:23], s[4:5]
	s_xor_b64 s[22:23], exec, s[22:23]
	s_cbranch_execz .LBB12_38
; %bb.37:                               ;   in Loop: Header=BB12_20 Depth=2
	v_mov_b32_e32 v43, v39
	s_waitcnt vmcnt(0) lgkmcnt(0)
	v_lshlrev_b64 v[20:21], 1, v[42:43]
	v_mov_b32_e32 v22, s11
	v_add_co_u32_e64 v20, s[4:5], s10, v20
	v_addc_co_u32_e64 v21, s[4:5], v22, v21, s[4:5]
	global_load_dwordx4 v[20:23], v[20:21], off
.LBB12_38:                              ;   in Loop: Header=BB12_20 Depth=2
	s_andn2_saveexec_b64 s[4:5], s[22:23]
	s_cbranch_execz .LBB12_40
; %bb.39:                               ;   in Loop: Header=BB12_20 Depth=2
	s_waitcnt vmcnt(0) lgkmcnt(0)
	ds_read_b128 v[20:23], v49 offset:1024
.LBB12_40:                              ;   in Loop: Header=BB12_20 Depth=2
	s_or_b64 exec, exec, s[4:5]
	v_add_u32_e32 v38, 0x200, v38
	v_cmp_lt_u32_e64 s[4:5], s29, v38
                                        ; implicit-def: $vgpr28_vgpr29
	s_and_saveexec_b64 s[22:23], s[4:5]
	s_xor_b64 s[22:23], exec, s[22:23]
	s_cbranch_execz .LBB12_42
; %bb.41:                               ;   in Loop: Header=BB12_20 Depth=2
	s_waitcnt vmcnt(0) lgkmcnt(0)
	v_lshlrev_b64 v[28:29], 1, v[38:39]
	v_mov_b32_e32 v30, s11
	v_add_co_u32_e64 v28, s[4:5], s10, v28
	v_addc_co_u32_e64 v29, s[4:5], v30, v29, s[4:5]
	global_load_dwordx4 v[28:31], v[28:29], off
.LBB12_42:                              ;   in Loop: Header=BB12_20 Depth=2
	s_andn2_saveexec_b64 s[4:5], s[22:23]
	s_cbranch_execz .LBB12_44
; %bb.43:                               ;   in Loop: Header=BB12_20 Depth=2
	s_waitcnt vmcnt(0) lgkmcnt(0)
	v_add_u32_e32 v28, s26, v49
	ds_read_b128 v[28:31], v28 offset:1024
.LBB12_44:                              ;   in Loop: Header=BB12_20 Depth=2
	s_or_b64 exec, exec, s[4:5]
.LBB12_45:                              ;   in Loop: Header=BB12_20 Depth=2
	s_or_b64 exec, exec, s[20:21]
	s_or_b64 exec, exec, s[6:7]
	s_and_saveexec_b64 s[6:7], vcc
	s_cbranch_execz .LBB12_23
.LBB12_46:                              ;   in Loop: Header=BB12_20 Depth=2
	s_waitcnt vmcnt(0) lgkmcnt(0)
	;;#ASMSTART
	v_dot2c_f32_f16 v35, v12, v8
	;;#ASMEND
	;;#ASMSTART
	v_dot2c_f32_f16 v48, v12, v16
	;;#ASMEND
	;; [unrolled: 3-line block ×6, first 2 shown]
	v_cmp_gt_u32_e64 s[4:5], s8, v42
	;;#ASMSTART
	v_dot2c_f32_f16 v35, v15, v11
	;;#ASMEND
	;;#ASMSTART
	v_dot2c_f32_f16 v48, v15, v19
	;;#ASMEND
	s_and_saveexec_b64 s[20:21], s[4:5]
	s_cbranch_execz .LBB12_48
; %bb.47:                               ;   in Loop: Header=BB12_20 Depth=2
	;;#ASMSTART
	v_dot2c_f32_f16 v35, v20, v0
	;;#ASMEND
	;;#ASMSTART
	v_dot2c_f32_f16 v48, v20, v4
	;;#ASMEND
	;; [unrolled: 3-line block ×8, first 2 shown]
.LBB12_48:                              ;   in Loop: Header=BB12_20 Depth=2
	s_or_b64 exec, exec, s[20:21]
	s_or_b64 exec, exec, s[6:7]
	s_and_saveexec_b64 s[4:5], vcc
	s_cbranch_execz .LBB12_19
.LBB12_49:                              ;   in Loop: Header=BB12_20 Depth=2
	s_waitcnt vmcnt(0) lgkmcnt(0)
	;;#ASMSTART
	v_dot2c_f32_f16 v47, v24, v8
	;;#ASMEND
	;;#ASMSTART
	v_dot2c_f32_f16 v41, v24, v16
	;;#ASMEND
	;; [unrolled: 3-line block ×6, first 2 shown]
	v_cmp_gt_u32_e32 vcc, s8, v42
	;;#ASMSTART
	v_dot2c_f32_f16 v47, v27, v11
	;;#ASMEND
	;;#ASMSTART
	v_dot2c_f32_f16 v41, v27, v19
	;;#ASMEND
	s_and_saveexec_b64 s[6:7], vcc
	s_cbranch_execz .LBB12_18
; %bb.50:                               ;   in Loop: Header=BB12_20 Depth=2
	;;#ASMSTART
	v_dot2c_f32_f16 v47, v28, v0
	;;#ASMEND
	;;#ASMSTART
	v_dot2c_f32_f16 v41, v28, v4
	;;#ASMEND
	;;#ASMSTART
	v_dot2c_f32_f16 v47, v29, v1
	;;#ASMEND
	;;#ASMSTART
	v_dot2c_f32_f16 v41, v29, v5
	;;#ASMEND
	;;#ASMSTART
	v_dot2c_f32_f16 v47, v30, v2
	;;#ASMEND
	;;#ASMSTART
	v_dot2c_f32_f16 v41, v30, v6
	;;#ASMEND
	;;#ASMSTART
	v_dot2c_f32_f16 v47, v31, v3
	;;#ASMEND
	;;#ASMSTART
	v_dot2c_f32_f16 v41, v31, v7
	;;#ASMEND
	s_branch .LBB12_18
.LBB12_51:                              ;   in Loop: Header=BB12_16 Depth=1
	v_mov_b32_e32 v35, v39
	v_mov_b32_e32 v48, v39
	;; [unrolled: 1-line block ×4, first 2 shown]
.LBB12_52:                              ;   in Loop: Header=BB12_16 Depth=1
	;;#ASMSTART
	s_nop 0
	v_add_f32 v35, v35, v35 row_shr:8 bound_ctrl:0 
	;;#ASMEND
	;;#ASMSTART
	s_nop 0
	v_add_f32 v48, v48, v48 row_shr:8 bound_ctrl:0 
	;;#ASMEND
	;; [unrolled: 4-line block ×12, first 2 shown]
	;;#ASMSTART
	s_nop 0
	v_add_f32 v35, v35, v35 wave_shr:1 bound_ctrl:0
	;;#ASMEND
	;;#ASMSTART
	s_nop 0
	v_add_f32 v48, v48, v48 wave_shr:1 bound_ctrl:0
	;;#ASMEND
	;; [unrolled: 4-line block ×4, first 2 shown]
	;;#ASMSTART
	s_nop 0
	v_add_f32 v35, v35, v35 row_bcast:15 bound_ctrl:0
	;;#ASMEND
	;;#ASMSTART
	s_nop 0
	v_add_f32 v48, v48, v48 row_bcast:15 bound_ctrl:0
	;;#ASMEND
	;; [unrolled: 4-line block ×8, first 2 shown]
	s_and_saveexec_b64 s[20:21], s[0:1]
	s_cbranch_execz .LBB12_58
; %bb.53:                               ;   in Loop: Header=BB12_16 Depth=1
	v_cmp_ne_u32_e32 vcc, 0, v32
	s_and_saveexec_b64 s[6:7], vcc
	s_cbranch_execnz .LBB12_63
; %bb.54:                               ;   in Loop: Header=BB12_16 Depth=1
	s_or_b64 exec, exec, s[6:7]
	v_cmp_ne_u32_e64 s[4:5], 0, v33
	s_and_saveexec_b64 s[22:23], s[4:5]
	s_cbranch_execnz .LBB12_64
.LBB12_55:                              ;   in Loop: Header=BB12_16 Depth=1
	s_or_b64 exec, exec, s[22:23]
	v_add_u32_e32 v38, s9, v34
	s_and_saveexec_b64 s[6:7], vcc
	s_cbranch_execnz .LBB12_65
.LBB12_56:                              ;   in Loop: Header=BB12_16 Depth=1
	s_or_b64 exec, exec, s[6:7]
	s_and_b64 exec, exec, s[4:5]
	s_cbranch_execz .LBB12_58
.LBB12_57:                              ;   in Loop: Header=BB12_16 Depth=1
	v_cvt_f16_f32_e32 v35, v41
	v_add_u32_e32 v38, 1, v38
	v_lshlrev_b64 v[40:41], 1, v[38:39]
	s_waitcnt lgkmcnt(0)
	v_mov_b32_e32 v38, s15
	v_add_co_u32_e32 v40, vcc, s14, v40
	v_addc_co_u32_e32 v41, vcc, v38, v41, vcc
	global_store_short v[40:41], v35, off
.LBB12_58:                              ;   in Loop: Header=BB12_16 Depth=1
	s_or_b64 exec, exec, s[20:21]
	v_add_u32_e32 v34, s27, v34
	v_add_u32_e32 v35, 2, v34
	v_cmp_gt_u32_e32 vcc, s9, v34
	v_cmp_le_u32_e64 s[4:5], s9, v35
	s_and_b64 s[4:5], vcc, s[4:5]
	s_and_saveexec_b64 s[6:7], s[4:5]
	s_cbranch_execz .LBB12_15
; %bb.59:                               ;   in Loop: Header=BB12_16 Depth=1
	v_cmp_ne_u32_e32 vcc, s28, v34
	s_and_saveexec_b64 s[20:21], vcc
	s_cbranch_execz .LBB12_14
; %bb.60:                               ;   in Loop: Header=BB12_16 Depth=1
	v_subrev_u32_e32 v34, s28, v34
	v_cmp_lt_u32_e32 vcc, 1, v34
	v_cndmask_b32_e32 v34, 1, v34, vcc
	s_mov_b64 s[22:23], 0
	s_mov_b64 s[24:25], 0
.LBB12_61:                              ;   Parent Loop BB12_16 Depth=1
                                        ; =>  This Inner Loop Header: Depth=2
	s_cmp_lg_u32 s24, 1
	s_cselect_b64 vcc, -1, 0
	s_cmp_lg_u32 s24, 0
	v_cndmask_b32_e32 v33, 0, v33, vcc
	s_cselect_b64 vcc, -1, 0
	s_add_u32 s24, s24, 1
	s_addc_u32 s25, s25, 0
	v_cmp_eq_u32_e64 s[4:5], s24, v34
	s_or_b64 s[22:23], s[4:5], s[22:23]
	v_cndmask_b32_e32 v32, 0, v32, vcc
	s_andn2_b64 exec, exec, s[22:23]
	s_cbranch_execnz .LBB12_61
; %bb.62:                               ;   in Loop: Header=BB12_16 Depth=1
	s_or_b64 exec, exec, s[22:23]
	s_branch .LBB12_14
.LBB12_63:                              ;   in Loop: Header=BB12_16 Depth=1
	v_cvt_f16_f32_e32 v38, v35
	v_mov_b32_e32 v35, v39
	v_lshlrev_b64 v[42:43], 1, v[34:35]
	s_waitcnt lgkmcnt(0)
	v_mov_b32_e32 v35, s15
	v_add_co_u32_e64 v42, s[4:5], s14, v42
	v_addc_co_u32_e64 v43, s[4:5], v35, v43, s[4:5]
	global_store_short v[42:43], v38, off
	s_or_b64 exec, exec, s[6:7]
	v_cmp_ne_u32_e64 s[4:5], 0, v33
	s_and_saveexec_b64 s[22:23], s[4:5]
	s_cbranch_execz .LBB12_55
.LBB12_64:                              ;   in Loop: Header=BB12_16 Depth=1
	v_cvt_f16_f32_e32 v35, v48
	v_add_u32_e32 v38, 1, v34
	v_lshlrev_b64 v[42:43], 1, v[38:39]
	s_waitcnt lgkmcnt(0)
	v_mov_b32_e32 v38, s15
	v_add_co_u32_e64 v42, s[6:7], s14, v42
	v_addc_co_u32_e64 v43, s[6:7], v38, v43, s[6:7]
	global_store_short v[42:43], v35, off
	s_or_b64 exec, exec, s[22:23]
	v_add_u32_e32 v38, s9, v34
	s_and_saveexec_b64 s[6:7], vcc
	s_cbranch_execz .LBB12_56
.LBB12_65:                              ;   in Loop: Header=BB12_16 Depth=1
	v_cvt_f16_f32_e32 v35, v47
	v_lshlrev_b64 v[42:43], 1, v[38:39]
	s_waitcnt lgkmcnt(0)
	v_mov_b32_e32 v40, s15
	v_add_co_u32_e32 v42, vcc, s14, v42
	v_addc_co_u32_e32 v43, vcc, v40, v43, vcc
	global_store_short v[42:43], v35, off
	s_or_b64 exec, exec, s[6:7]
	s_and_b64 exec, exec, s[4:5]
	s_cbranch_execnz .LBB12_57
	s_branch .LBB12_58
.LBB12_66:
	s_endpgm
	.section	.rodata,"a",@progbits
	.p2align	6, 0x0
	.amdhsa_kernel _Z12wvSplitK_hf_I6__halfLi64ELi2ELi16ELi8ELi2ELi2EEviiPKT_S3_PS1_ii
		.amdhsa_group_segment_fixed_size 65536
		.amdhsa_private_segment_fixed_size 0
		.amdhsa_kernarg_size 40
		.amdhsa_user_sgpr_count 6
		.amdhsa_user_sgpr_private_segment_buffer 1
		.amdhsa_user_sgpr_dispatch_ptr 0
		.amdhsa_user_sgpr_queue_ptr 0
		.amdhsa_user_sgpr_kernarg_segment_ptr 1
		.amdhsa_user_sgpr_dispatch_id 0
		.amdhsa_user_sgpr_flat_scratch_init 0
		.amdhsa_user_sgpr_kernarg_preload_length 0
		.amdhsa_user_sgpr_kernarg_preload_offset 0
		.amdhsa_user_sgpr_private_segment_size 0
		.amdhsa_uses_dynamic_stack 0
		.amdhsa_system_sgpr_private_segment_wavefront_offset 0
		.amdhsa_system_sgpr_workgroup_id_x 1
		.amdhsa_system_sgpr_workgroup_id_y 0
		.amdhsa_system_sgpr_workgroup_id_z 0
		.amdhsa_system_sgpr_workgroup_info 0
		.amdhsa_system_vgpr_workitem_id 1
		.amdhsa_next_free_vgpr 54
		.amdhsa_next_free_sgpr 30
		.amdhsa_accum_offset 56
		.amdhsa_reserve_vcc 1
		.amdhsa_reserve_flat_scratch 0
		.amdhsa_float_round_mode_32 0
		.amdhsa_float_round_mode_16_64 0
		.amdhsa_float_denorm_mode_32 3
		.amdhsa_float_denorm_mode_16_64 3
		.amdhsa_dx10_clamp 1
		.amdhsa_ieee_mode 1
		.amdhsa_fp16_overflow 0
		.amdhsa_tg_split 0
		.amdhsa_exception_fp_ieee_invalid_op 0
		.amdhsa_exception_fp_denorm_src 0
		.amdhsa_exception_fp_ieee_div_zero 0
		.amdhsa_exception_fp_ieee_overflow 0
		.amdhsa_exception_fp_ieee_underflow 0
		.amdhsa_exception_fp_ieee_inexact 0
		.amdhsa_exception_int_div_zero 0
	.end_amdhsa_kernel
	.section	.text._Z12wvSplitK_hf_I6__halfLi64ELi2ELi16ELi8ELi2ELi2EEviiPKT_S3_PS1_ii,"axG",@progbits,_Z12wvSplitK_hf_I6__halfLi64ELi2ELi16ELi8ELi2ELi2EEviiPKT_S3_PS1_ii,comdat
.Lfunc_end12:
	.size	_Z12wvSplitK_hf_I6__halfLi64ELi2ELi16ELi8ELi2ELi2EEviiPKT_S3_PS1_ii, .Lfunc_end12-_Z12wvSplitK_hf_I6__halfLi64ELi2ELi16ELi8ELi2ELi2EEviiPKT_S3_PS1_ii
                                        ; -- End function
	.section	.AMDGPU.csdata,"",@progbits
; Kernel info:
; codeLenInByte = 2432
; NumSgprs: 34
; NumVgprs: 54
; NumAgprs: 0
; TotalNumVgprs: 54
; ScratchSize: 0
; MemoryBound: 1
; FloatMode: 240
; IeeeMode: 1
; LDSByteSize: 65536 bytes/workgroup (compile time only)
; SGPRBlocks: 4
; VGPRBlocks: 6
; NumSGPRsForWavesPerEU: 34
; NumVGPRsForWavesPerEU: 54
; AccumOffset: 56
; Occupancy: 4
; WaveLimiterHint : 0
; COMPUTE_PGM_RSRC2:SCRATCH_EN: 0
; COMPUTE_PGM_RSRC2:USER_SGPR: 6
; COMPUTE_PGM_RSRC2:TRAP_HANDLER: 0
; COMPUTE_PGM_RSRC2:TGID_X_EN: 1
; COMPUTE_PGM_RSRC2:TGID_Y_EN: 0
; COMPUTE_PGM_RSRC2:TGID_Z_EN: 0
; COMPUTE_PGM_RSRC2:TIDIG_COMP_CNT: 1
; COMPUTE_PGM_RSRC3_GFX90A:ACCUM_OFFSET: 13
; COMPUTE_PGM_RSRC3_GFX90A:TG_SPLIT: 0
	.section	.text._Z16wvSplitK_hf_big_I6__halfLi64ELi2ELi16ELi8ELi2ELi2EEviiPKT_S3_PS1_ii,"axG",@progbits,_Z16wvSplitK_hf_big_I6__halfLi64ELi2ELi16ELi8ELi2ELi2EEviiPKT_S3_PS1_ii,comdat
	.protected	_Z16wvSplitK_hf_big_I6__halfLi64ELi2ELi16ELi8ELi2ELi2EEviiPKT_S3_PS1_ii ; -- Begin function _Z16wvSplitK_hf_big_I6__halfLi64ELi2ELi16ELi8ELi2ELi2EEviiPKT_S3_PS1_ii
	.globl	_Z16wvSplitK_hf_big_I6__halfLi64ELi2ELi16ELi8ELi2ELi2EEviiPKT_S3_PS1_ii
	.p2align	8
	.type	_Z16wvSplitK_hf_big_I6__halfLi64ELi2ELi16ELi8ELi2ELi2EEviiPKT_S3_PS1_ii,@function
_Z16wvSplitK_hf_big_I6__halfLi64ELi2ELi16ELi8ELi2ELi2EEviiPKT_S3_PS1_ii: ; @_Z16wvSplitK_hf_big_I6__halfLi64ELi2ELi16ELi8ELi2ELi2EEviiPKT_S3_PS1_ii
; %bb.0:
	s_load_dwordx2 s[2:3], s[4:5], 0x20
	v_bfe_u32 v1, v0, 10, 10
	s_waitcnt lgkmcnt(0)
	v_cmp_gt_u32_e32 vcc, s2, v1
	s_and_saveexec_b64 s[0:1], vcc
	s_cbranch_execz .LBB13_55
; %bb.1:
	s_load_dwordx2 s[10:11], s[4:5], 0x0
	s_mul_i32 s0, s6, s2
	v_add_lshl_u32 v34, s0, v1, 1
	s_mov_b32 s6, 1
	v_add_u32_e32 v2, 2, v34
	s_waitcnt lgkmcnt(0)
	v_cmp_gt_u32_e32 vcc, s11, v34
	v_cmp_le_u32_e64 s[0:1], s11, v2
	s_mov_b32 s7, s6
	s_and_b64 s[8:9], vcc, s[0:1]
	v_pk_mov_b32 v[32:33], s[6:7], s[6:7] op_sel:[0,1]
	s_and_saveexec_b64 s[0:1], s[8:9]
	s_cbranch_execz .LBB13_7
; %bb.2:
	s_add_i32 s16, s11, -2
	v_cmp_ne_u32_e32 vcc, s16, v34
	v_pk_mov_b32 v[32:33], s[6:7], s[6:7] op_sel:[0,1]
	s_and_saveexec_b64 s[6:7], vcc
	s_cbranch_execz .LBB13_6
; %bb.3:
	v_subrev_u32_e32 v2, s16, v34
	s_mov_b32 s8, 1
	v_cmp_lt_u32_e32 vcc, 1, v2
	v_cndmask_b32_e32 v2, 1, v2, vcc
	s_mov_b64 s[12:13], 0
	s_mov_b64 s[14:15], 0
	s_mov_b32 s9, s8
.LBB13_4:                               ; =>This Inner Loop Header: Depth=1
	s_cmp_lg_u32 s14, 1
	s_cselect_b32 s9, s9, 0
	s_cmp_lg_u32 s14, 0
	s_cselect_b32 s8, s8, 0
	s_add_u32 s14, s14, 1
	s_addc_u32 s15, s15, 0
	v_cmp_eq_u32_e32 vcc, s14, v2
	s_or_b64 s[12:13], vcc, s[12:13]
	v_pk_mov_b32 v[32:33], s[8:9], s[8:9] op_sel:[0,1]
	s_andn2_b64 exec, exec, s[12:13]
	s_cbranch_execnz .LBB13_4
; %bb.5:
	s_or_b64 exec, exec, s[12:13]
	v_mov_b32_e32 v34, s16
.LBB13_6:
	s_or_b64 exec, exec, s[6:7]
.LBB13_7:
	s_or_b64 exec, exec, s[0:1]
	s_lshl_b32 s0, s2, 1
	s_abs_i32 s1, s0
	v_cvt_f32_u32_e32 v2, s1
	s_sub_i32 s8, 0, s1
	s_abs_i32 s7, s11
	s_ashr_i32 s6, s11, 31
	v_rcp_iflag_f32_e32 v2, v2
	v_mul_f32_e32 v2, 0x4f7ffffe, v2
	v_cvt_u32_f32_e32 v2, v2
	v_readfirstlane_b32 s9, v2
	s_mul_i32 s8, s8, s9
	s_mul_hi_u32 s8, s9, s8
	s_add_i32 s9, s9, s8
	s_mul_hi_u32 s8, s7, s9
	s_mul_i32 s8, s8, s1
	s_sub_i32 s7, s7, s8
	s_sub_i32 s8, s7, s1
	s_cmp_ge_u32 s7, s1
	s_cselect_b32 s7, s8, s7
	s_sub_i32 s8, s7, s1
	s_cmp_ge_u32 s7, s1
	s_cselect_b32 s1, s8, s7
	s_xor_b32 s1, s1, s6
	s_sub_i32 s1, s1, s6
	s_add_i32 s0, s0, s11
	s_sub_i32 s0, s0, s1
	s_cmp_eq_u32 s1, 0
	s_cselect_b32 s30, s11, s0
	v_cmp_gt_u32_e32 vcc, s30, v34
	s_and_b64 exec, exec, vcc
	s_cbranch_execz .LBB13_55
; %bb.8:
	s_load_dwordx4 s[12:15], s[4:5], 0x8
	s_load_dwordx2 s[16:17], s[4:5], 0x18
	s_mov_b32 s0, 0
	v_cvt_f64_i32_e32 v[2:3], s10
	s_mov_b32 s1, 0x40d00000
	v_min_f64 v[2:3], v[2:3], s[0:1]
	s_cmp_lg_u32 s10, 0
	v_and_b32_e32 v0, 0x3ff, v0
	s_mul_i32 s0, s3, s2
	v_cvt_u32_f64_e32 v2, v[2:3]
	v_lshlrev_b32_e32 v38, 3, v0
	s_cselect_b64 s[4:5], -1, 0
	s_lshl_b32 s33, s2, 9
	s_lshl_b32 s34, s0, 1
	v_cmp_eq_u32_e64 s[0:1], 63, v0
	s_add_i32 s35, s11, -2
	s_ashr_i32 s7, s10, 31
	v_lshlrev_b32_e32 v0, 4, v0
	s_waitcnt lgkmcnt(0)
	s_add_u32 s36, s16, 2
	v_lshl_add_u32 v40, v1, 10, v0
	v_cndmask_b32_e64 v0, 0, 1, s[4:5]
	v_cmp_ne_u32_e32 vcc, 0, v2
	s_mov_b32 s6, s10
	s_addc_u32 s37, s17, 0
	s_lshl_b32 s38, s2, 10
	v_lshl_add_u32 v41, v1, 9, v38
	v_cmp_ne_u32_e64 s[2:3], 1, v0
	v_cndmask_b32_e64 v0, 0, 1, vcc
	v_readfirstlane_b32 s31, v2
	v_lshlrev_b32_e32 v39, 1, v2
	v_add_u32_e32 v42, s10, v41
	s_mov_b64 s[18:19], 0
	v_cmp_ne_u32_e64 s[4:5], 1, v0
	v_mov_b32_e32 v37, 0
	s_lshl_b64 s[20:21], s[6:7], 1
                                        ; implicit-def: $vgpr24_vgpr25_vgpr26_vgpr27
                                        ; implicit-def: $vgpr28_vgpr29_vgpr30_vgpr31
                                        ; implicit-def: $vgpr16_vgpr17_vgpr18_vgpr19
                                        ; implicit-def: $vgpr20_vgpr21_vgpr22_vgpr23
                                        ; implicit-def: $vgpr14_vgpr15
                                        ; implicit-def: $vgpr2_vgpr3
                                        ; implicit-def: $vgpr6_vgpr7
                                        ; implicit-def: $vgpr10_vgpr11
	s_branch .LBB13_12
.LBB13_9:                               ;   in Loop: Header=BB13_12 Depth=1
	s_or_b64 exec, exec, s[24:25]
	v_mov_b32_e32 v34, s35
.LBB13_10:                              ;   in Loop: Header=BB13_12 Depth=1
	s_or_b64 exec, exec, s[8:9]
.LBB13_11:                              ;   in Loop: Header=BB13_12 Depth=1
	s_or_b64 exec, exec, s[22:23]
	v_cmp_le_u32_e32 vcc, s30, v34
	s_or_b64 s[18:19], vcc, s[18:19]
	s_andn2_b64 exec, exec, s[18:19]
	s_cbranch_execz .LBB13_55
.LBB13_12:                              ; =>This Loop Header: Depth=1
                                        ;     Child Loop BB13_17 Depth 2
                                        ;       Child Loop BB13_21 Depth 3
                                        ;     Child Loop BB13_50 Depth 2
	s_and_b64 vcc, exec, s[2:3]
	s_mov_b32 s28, 0
	s_cbranch_vccnz .LBB13_37
; %bb.13:                               ;   in Loop: Header=BB13_12 Depth=1
	v_cmp_gt_u32_e64 s[6:7], s11, v34
	v_mul_lo_u32 v46, v34, s10
	v_mov_b32_e32 v43, 0
	v_mov_b32_e32 v44, 0
	;; [unrolled: 1-line block ×4, first 2 shown]
	s_mov_b32 s29, 0
	s_branch .LBB13_17
.LBB13_14:                              ;   in Loop: Header=BB13_17 Depth=2
	s_or_b64 exec, exec, s[24:25]
.LBB13_15:                              ;   in Loop: Header=BB13_17 Depth=2
	s_or_b64 exec, exec, s[8:9]
.LBB13_16:                              ;   in Loop: Header=BB13_17 Depth=2
	s_or_b64 exec, exec, s[22:23]
	s_addk_i32 s29, 0x400
	s_cmp_ge_u32 s29, s10
	s_cbranch_scc1 .LBB13_38
.LBB13_17:                              ;   Parent Loop BB13_12 Depth=1
                                        ; =>  This Loop Header: Depth=2
                                        ;       Child Loop BB13_21 Depth 3
	s_cmp_eq_u32 s29, 0
	s_cselect_b64 s[8:9], -1, 0
	s_add_i32 s22, s28, s31
	s_cmp_eq_u32 s29, s22
	s_cselect_b64 s[24:25], -1, 0
	s_or_b64 s[24:25], s[8:9], s[24:25]
	s_andn2_b64 vcc, exec, s[24:25]
	s_cbranch_vccnz .LBB13_25
; %bb.18:                               ;   in Loop: Header=BB13_17 Depth=2
	s_and_b64 s[8:9], s[8:9], exec
	s_cselect_b32 s28, s28, s22
	s_and_b64 vcc, exec, s[4:5]
	s_barrier
	s_cbranch_vccnz .LBB13_24
; %bb.19:                               ;   in Loop: Header=BB13_17 Depth=2
	v_add_u32_e32 v47, s28, v42
	v_add_u32_e32 v48, s28, v41
	s_mov_b32 s26, 0
	s_mov_b64 s[22:23], 0
	v_mov_b32_e32 v49, v40
                                        ; implicit-def: $sgpr24_sgpr25
	s_branch .LBB13_21
.LBB13_20:                              ;   in Loop: Header=BB13_21 Depth=3
	s_or_b64 exec, exec, s[8:9]
	s_and_b64 s[8:9], exec, s[24:25]
	s_or_b64 s[22:23], s[8:9], s[22:23]
	s_andn2_b64 exec, exec, s[22:23]
	s_cbranch_execz .LBB13_23
.LBB13_21:                              ;   Parent Loop BB13_12 Depth=1
                                        ;     Parent Loop BB13_17 Depth=2
                                        ; =>    This Inner Loop Header: Depth=3
	v_add_u32_e32 v50, s26, v41
	v_add_u32_e32 v36, s26, v48
	v_cmp_gt_u32_e32 vcc, s10, v36
	v_cmp_gt_u32_e64 s[8:9], s31, v50
	s_and_b64 s[40:41], vcc, s[8:9]
	s_or_b64 s[24:25], s[24:25], exec
	s_and_saveexec_b64 s[8:9], s[40:41]
	s_cbranch_execz .LBB13_20
; %bb.22:                               ;   in Loop: Header=BB13_21 Depth=3
	v_lshlrev_b64 v[50:51], 1, v[36:37]
	v_mov_b32_e32 v56, s15
	v_add_co_u32_e32 v50, vcc, s14, v50
	v_add_u32_e32 v36, s26, v47
	v_addc_co_u32_e32 v51, vcc, v56, v51, vcc
	v_lshlrev_b64 v[54:55], 1, v[36:37]
	v_add_co_u32_e32 v54, vcc, s14, v54
	global_load_dwordx4 v[50:53], v[50:51], off
	v_addc_co_u32_e32 v55, vcc, v56, v55, vcc
	global_load_dwordx4 v[54:57], v[54:55], off
	s_add_i32 s26, s26, s33
	s_cmp_ge_u32 s26, s31
	s_cselect_b64 s[40:41], -1, 0
	s_andn2_b64 s[24:25], s[24:25], exec
	s_and_b64 s[40:41], s[40:41], exec
	v_add_u32_e32 v36, v49, v39
	s_or_b64 s[24:25], s[24:25], s[40:41]
	s_waitcnt vmcnt(1)
	ds_write_b128 v49, v[50:53]
	v_add_u32_e32 v49, s38, v49
	s_waitcnt vmcnt(0)
	ds_write2_b64 v36, v[54:55], v[56:57] offset1:1
	s_branch .LBB13_20
.LBB13_23:                              ;   in Loop: Header=BB13_17 Depth=2
	s_or_b64 exec, exec, s[22:23]
.LBB13_24:                              ;   in Loop: Header=BB13_17 Depth=2
	s_waitcnt lgkmcnt(0)
	s_barrier
.LBB13_25:                              ;   in Loop: Header=BB13_17 Depth=2
	s_and_saveexec_b64 s[22:23], s[6:7]
	s_cbranch_execz .LBB13_16
; %bb.26:                               ;   in Loop: Header=BB13_17 Depth=2
	v_add_u32_e32 v47, s29, v38
	v_cmp_gt_u32_e32 vcc, s10, v47
	s_and_saveexec_b64 s[24:25], vcc
	s_cbranch_execnz .LBB13_29
; %bb.27:                               ;   in Loop: Header=BB13_17 Depth=2
	s_or_b64 exec, exec, s[24:25]
	s_and_saveexec_b64 s[24:25], vcc
	s_cbranch_execnz .LBB13_32
.LBB13_28:                              ;   in Loop: Header=BB13_17 Depth=2
	s_or_b64 exec, exec, s[24:25]
	s_and_saveexec_b64 s[8:9], vcc
	s_cbranch_execz .LBB13_15
	s_branch .LBB13_35
.LBB13_29:                              ;   in Loop: Header=BB13_17 Depth=2
	v_add_u32_e32 v36, v47, v46
	s_waitcnt vmcnt(1)
	v_lshlrev_b64 v[20:21], 1, v[36:37]
	v_mov_b32_e32 v22, s13
	v_add_co_u32_e64 v48, s[8:9], s12, v20
	v_addc_co_u32_e64 v49, s[8:9], v22, v21, s[8:9]
	v_mov_b32_e32 v20, s21
	v_add_co_u32_e64 v50, s[8:9], s20, v48
	v_addc_co_u32_e64 v51, s[8:9], v49, v20, s[8:9]
	global_load_dwordx4 v[20:23], v[48:49], off glc slc
	global_load_dwordx4 v[28:31], v[50:51], off glc slc
	v_add_u32_e32 v36, 0x200, v47
	v_cmp_gt_u32_e64 s[8:9], s10, v36
	s_and_saveexec_b64 s[26:27], s[8:9]
	s_cbranch_execz .LBB13_31
; %bb.30:                               ;   in Loop: Header=BB13_17 Depth=2
	v_add_u32_e32 v36, v36, v46
	v_lshlrev_b64 v[16:17], 1, v[36:37]
	v_mov_b32_e32 v18, s13
	v_add_co_u32_e64 v48, s[8:9], s12, v16
	v_addc_co_u32_e64 v49, s[8:9], v18, v17, s[8:9]
	v_mov_b32_e32 v16, s21
	v_add_co_u32_e64 v50, s[8:9], s20, v48
	v_addc_co_u32_e64 v51, s[8:9], v49, v16, s[8:9]
	global_load_dwordx4 v[16:19], v[48:49], off glc slc
	global_load_dwordx4 v[24:27], v[50:51], off glc slc
.LBB13_31:                              ;   in Loop: Header=BB13_17 Depth=2
	s_or_b64 exec, exec, s[26:27]
	s_or_b64 exec, exec, s[24:25]
	s_and_saveexec_b64 s[24:25], vcc
	s_cbranch_execz .LBB13_28
.LBB13_32:                              ;   in Loop: Header=BB13_17 Depth=2
	s_waitcnt lgkmcnt(0)
	v_subrev_u32_e32 v4, s28, v47
	v_lshlrev_b32_e32 v48, 1, v4
	v_lshl_add_u32 v36, s31, 1, v48
	ds_read_b128 v[8:11], v48
	ds_read_b128 v[4:7], v36
	v_add_u32_e32 v49, 0x200, v47
	v_cmp_gt_u32_e64 s[8:9], s10, v49
	s_and_saveexec_b64 s[26:27], s[8:9]
	s_cbranch_execz .LBB13_34
; %bb.33:                               ;   in Loop: Header=BB13_17 Depth=2
	ds_read_b128 v[0:3], v48 offset:1024
	ds_read_b128 v[12:15], v36 offset:1024
.LBB13_34:                              ;   in Loop: Header=BB13_17 Depth=2
	s_or_b64 exec, exec, s[26:27]
	s_or_b64 exec, exec, s[24:25]
	s_and_saveexec_b64 s[8:9], vcc
	s_cbranch_execz .LBB13_15
.LBB13_35:                              ;   in Loop: Header=BB13_17 Depth=2
	s_waitcnt vmcnt(1) lgkmcnt(1)
	;;#ASMSTART
	v_dot2c_f32_f16 v35, v8, v20
	;;#ASMEND
	s_waitcnt vmcnt(0)
	;;#ASMSTART
	v_dot2c_f32_f16 v45, v8, v28
	;;#ASMEND
	s_waitcnt lgkmcnt(0)
	;;#ASMSTART
	v_dot2c_f32_f16 v44, v4, v20
	;;#ASMEND
	;;#ASMSTART
	v_dot2c_f32_f16 v43, v4, v28
	;;#ASMEND
	;; [unrolled: 3-line block ×6, first 2 shown]
	v_add_u32_e32 v36, 0x200, v47
	;;#ASMSTART
	v_dot2c_f32_f16 v35, v10, v22
	;;#ASMEND
	;;#ASMSTART
	v_dot2c_f32_f16 v45, v10, v30
	;;#ASMEND
	;; [unrolled: 3-line block ×4, first 2 shown]
	v_cmp_gt_u32_e32 vcc, s10, v36
	;;#ASMSTART
	v_dot2c_f32_f16 v35, v11, v23
	;;#ASMEND
	;;#ASMSTART
	v_dot2c_f32_f16 v45, v11, v31
	;;#ASMEND
	;; [unrolled: 3-line block ×4, first 2 shown]
	s_and_saveexec_b64 s[24:25], vcc
	s_cbranch_execz .LBB13_14
; %bb.36:                               ;   in Loop: Header=BB13_17 Depth=2
	;;#ASMSTART
	v_dot2c_f32_f16 v35, v0, v16
	;;#ASMEND
	;;#ASMSTART
	v_dot2c_f32_f16 v45, v0, v24
	;;#ASMEND
	;; [unrolled: 3-line block ×16, first 2 shown]
	s_branch .LBB13_14
.LBB13_37:                              ;   in Loop: Header=BB13_12 Depth=1
	v_mov_b32_e32 v35, v37
	v_mov_b32_e32 v45, v37
	;; [unrolled: 1-line block ×4, first 2 shown]
.LBB13_38:                              ;   in Loop: Header=BB13_12 Depth=1
	v_cmp_le_u32_e32 vcc, s11, v34
	s_and_saveexec_b64 s[6:7], vcc
	s_xor_b64 s[6:7], exec, s[6:7]
; %bb.39:                               ;   in Loop: Header=BB13_12 Depth=1
	v_add_u32_e32 v34, s34, v34
                                        ; implicit-def: $vgpr35
                                        ; implicit-def: $vgpr45
                                        ; implicit-def: $vgpr44
                                        ; implicit-def: $vgpr43
; %bb.40:                               ;   in Loop: Header=BB13_12 Depth=1
	s_andn2_saveexec_b64 s[22:23], s[6:7]
	s_cbranch_execz .LBB13_11
; %bb.41:                               ;   in Loop: Header=BB13_12 Depth=1
	;;#ASMSTART
	s_nop 0
	v_add_f32 v35, v35, v35 row_shr:8 bound_ctrl:0 
	;;#ASMEND
	;;#ASMSTART
	s_nop 0
	v_add_f32 v45, v45, v45 row_shr:8 bound_ctrl:0 
	;;#ASMEND
	;; [unrolled: 4-line block ×12, first 2 shown]
	;;#ASMSTART
	s_nop 0
	v_add_f32 v35, v35, v35 wave_shr:1 bound_ctrl:0
	;;#ASMEND
	;;#ASMSTART
	s_nop 0
	v_add_f32 v45, v45, v45 wave_shr:1 bound_ctrl:0
	;;#ASMEND
	;; [unrolled: 4-line block ×4, first 2 shown]
	;;#ASMSTART
	s_nop 0
	v_add_f32 v35, v35, v35 row_bcast:15 bound_ctrl:0
	;;#ASMEND
	;;#ASMSTART
	s_nop 0
	v_add_f32 v45, v45, v45 row_bcast:15 bound_ctrl:0
	;;#ASMEND
	;; [unrolled: 4-line block ×8, first 2 shown]
	s_and_saveexec_b64 s[24:25], s[0:1]
	s_cbranch_execz .LBB13_47
; %bb.42:                               ;   in Loop: Header=BB13_12 Depth=1
	v_cmp_ne_u32_e32 vcc, 0, v32
	s_and_saveexec_b64 s[8:9], vcc
	s_cbranch_execnz .LBB13_52
; %bb.43:                               ;   in Loop: Header=BB13_12 Depth=1
	s_or_b64 exec, exec, s[8:9]
	v_cmp_ne_u32_e64 s[6:7], 0, v33
	s_and_saveexec_b64 s[26:27], s[6:7]
	s_cbranch_execnz .LBB13_53
.LBB13_44:                              ;   in Loop: Header=BB13_12 Depth=1
	s_or_b64 exec, exec, s[26:27]
	v_add_u32_e32 v36, s11, v34
	s_and_saveexec_b64 s[8:9], vcc
	s_cbranch_execnz .LBB13_54
.LBB13_45:                              ;   in Loop: Header=BB13_12 Depth=1
	s_or_b64 exec, exec, s[8:9]
	s_and_b64 exec, exec, s[6:7]
	s_cbranch_execz .LBB13_47
.LBB13_46:                              ;   in Loop: Header=BB13_12 Depth=1
	v_cvt_f16_f32_e32 v35, v43
	v_add_u32_e32 v36, 1, v36
	v_lshlrev_b64 v[44:45], 1, v[36:37]
	v_mov_b32_e32 v36, s17
	v_add_co_u32_e32 v44, vcc, s16, v44
	v_addc_co_u32_e32 v45, vcc, v36, v45, vcc
	global_store_short v[44:45], v35, off
.LBB13_47:                              ;   in Loop: Header=BB13_12 Depth=1
	s_or_b64 exec, exec, s[24:25]
	v_add_u32_e32 v34, s34, v34
	v_add_u32_e32 v35, 2, v34
	v_cmp_gt_u32_e32 vcc, s11, v34
	v_cmp_le_u32_e64 s[6:7], s11, v35
	s_and_b64 s[6:7], vcc, s[6:7]
	s_and_saveexec_b64 s[8:9], s[6:7]
	s_cbranch_execz .LBB13_10
; %bb.48:                               ;   in Loop: Header=BB13_12 Depth=1
	v_cmp_ne_u32_e32 vcc, s35, v34
	s_and_saveexec_b64 s[24:25], vcc
	s_cbranch_execz .LBB13_9
; %bb.49:                               ;   in Loop: Header=BB13_12 Depth=1
	v_subrev_u32_e32 v34, s35, v34
	v_cmp_lt_u32_e32 vcc, 1, v34
	v_cndmask_b32_e32 v34, 1, v34, vcc
	s_mov_b64 s[26:27], 0
	s_mov_b64 s[28:29], 0
.LBB13_50:                              ;   Parent Loop BB13_12 Depth=1
                                        ; =>  This Inner Loop Header: Depth=2
	s_cmp_lg_u32 s28, 1
	s_cselect_b64 vcc, -1, 0
	s_cmp_lg_u32 s28, 0
	v_cndmask_b32_e32 v33, 0, v33, vcc
	s_cselect_b64 vcc, -1, 0
	s_add_u32 s28, s28, 1
	s_addc_u32 s29, s29, 0
	v_cmp_eq_u32_e64 s[6:7], s28, v34
	s_or_b64 s[26:27], s[6:7], s[26:27]
	v_cndmask_b32_e32 v32, 0, v32, vcc
	s_andn2_b64 exec, exec, s[26:27]
	s_cbranch_execnz .LBB13_50
; %bb.51:                               ;   in Loop: Header=BB13_12 Depth=1
	s_or_b64 exec, exec, s[26:27]
	s_branch .LBB13_9
.LBB13_52:                              ;   in Loop: Header=BB13_12 Depth=1
	v_cvt_f16_f32_e32 v36, v35
	v_mov_b32_e32 v35, v37
	v_lshlrev_b64 v[46:47], 1, v[34:35]
	v_mov_b32_e32 v35, s17
	v_add_co_u32_e64 v46, s[6:7], s16, v46
	v_addc_co_u32_e64 v47, s[6:7], v35, v47, s[6:7]
	global_store_short v[46:47], v36, off
	s_or_b64 exec, exec, s[8:9]
	v_cmp_ne_u32_e64 s[6:7], 0, v33
	s_and_saveexec_b64 s[26:27], s[6:7]
	s_cbranch_execz .LBB13_44
.LBB13_53:                              ;   in Loop: Header=BB13_12 Depth=1
	v_cvt_f16_f32_e32 v36, v45
	v_mov_b32_e32 v35, v37
	v_lshlrev_b64 v[46:47], 1, v[34:35]
	v_mov_b32_e32 v35, s37
	v_add_co_u32_e64 v46, s[8:9], s36, v46
	v_addc_co_u32_e64 v47, s[8:9], v35, v47, s[8:9]
	global_store_short v[46:47], v36, off
	s_or_b64 exec, exec, s[26:27]
	v_add_u32_e32 v36, s11, v34
	s_and_saveexec_b64 s[8:9], vcc
	s_cbranch_execz .LBB13_45
.LBB13_54:                              ;   in Loop: Header=BB13_12 Depth=1
	v_cvt_f16_f32_e32 v35, v44
	v_lshlrev_b64 v[44:45], 1, v[36:37]
	v_mov_b32_e32 v46, s17
	v_add_co_u32_e32 v44, vcc, s16, v44
	v_addc_co_u32_e32 v45, vcc, v46, v45, vcc
	global_store_short v[44:45], v35, off
	s_or_b64 exec, exec, s[8:9]
	s_and_b64 exec, exec, s[6:7]
	s_cbranch_execnz .LBB13_46
	s_branch .LBB13_47
.LBB13_55:
	s_endpgm
	.section	.rodata,"a",@progbits
	.p2align	6, 0x0
	.amdhsa_kernel _Z16wvSplitK_hf_big_I6__halfLi64ELi2ELi16ELi8ELi2ELi2EEviiPKT_S3_PS1_ii
		.amdhsa_group_segment_fixed_size 65536
		.amdhsa_private_segment_fixed_size 0
		.amdhsa_kernarg_size 40
		.amdhsa_user_sgpr_count 6
		.amdhsa_user_sgpr_private_segment_buffer 1
		.amdhsa_user_sgpr_dispatch_ptr 0
		.amdhsa_user_sgpr_queue_ptr 0
		.amdhsa_user_sgpr_kernarg_segment_ptr 1
		.amdhsa_user_sgpr_dispatch_id 0
		.amdhsa_user_sgpr_flat_scratch_init 0
		.amdhsa_user_sgpr_kernarg_preload_length 0
		.amdhsa_user_sgpr_kernarg_preload_offset 0
		.amdhsa_user_sgpr_private_segment_size 0
		.amdhsa_uses_dynamic_stack 0
		.amdhsa_system_sgpr_private_segment_wavefront_offset 0
		.amdhsa_system_sgpr_workgroup_id_x 1
		.amdhsa_system_sgpr_workgroup_id_y 0
		.amdhsa_system_sgpr_workgroup_id_z 0
		.amdhsa_system_sgpr_workgroup_info 0
		.amdhsa_system_vgpr_workitem_id 1
		.amdhsa_next_free_vgpr 58
		.amdhsa_next_free_sgpr 42
		.amdhsa_accum_offset 60
		.amdhsa_reserve_vcc 1
		.amdhsa_reserve_flat_scratch 0
		.amdhsa_float_round_mode_32 0
		.amdhsa_float_round_mode_16_64 0
		.amdhsa_float_denorm_mode_32 3
		.amdhsa_float_denorm_mode_16_64 3
		.amdhsa_dx10_clamp 1
		.amdhsa_ieee_mode 1
		.amdhsa_fp16_overflow 0
		.amdhsa_tg_split 0
		.amdhsa_exception_fp_ieee_invalid_op 0
		.amdhsa_exception_fp_denorm_src 0
		.amdhsa_exception_fp_ieee_div_zero 0
		.amdhsa_exception_fp_ieee_overflow 0
		.amdhsa_exception_fp_ieee_underflow 0
		.amdhsa_exception_fp_ieee_inexact 0
		.amdhsa_exception_int_div_zero 0
	.end_amdhsa_kernel
	.section	.text._Z16wvSplitK_hf_big_I6__halfLi64ELi2ELi16ELi8ELi2ELi2EEviiPKT_S3_PS1_ii,"axG",@progbits,_Z16wvSplitK_hf_big_I6__halfLi64ELi2ELi16ELi8ELi2ELi2EEviiPKT_S3_PS1_ii,comdat
.Lfunc_end13:
	.size	_Z16wvSplitK_hf_big_I6__halfLi64ELi2ELi16ELi8ELi2ELi2EEviiPKT_S3_PS1_ii, .Lfunc_end13-_Z16wvSplitK_hf_big_I6__halfLi64ELi2ELi16ELi8ELi2ELi2EEviiPKT_S3_PS1_ii
                                        ; -- End function
	.section	.AMDGPU.csdata,"",@progbits
; Kernel info:
; codeLenInByte = 2356
; NumSgprs: 46
; NumVgprs: 58
; NumAgprs: 0
; TotalNumVgprs: 58
; ScratchSize: 0
; MemoryBound: 0
; FloatMode: 240
; IeeeMode: 1
; LDSByteSize: 65536 bytes/workgroup (compile time only)
; SGPRBlocks: 5
; VGPRBlocks: 7
; NumSGPRsForWavesPerEU: 46
; NumVGPRsForWavesPerEU: 58
; AccumOffset: 60
; Occupancy: 4
; WaveLimiterHint : 0
; COMPUTE_PGM_RSRC2:SCRATCH_EN: 0
; COMPUTE_PGM_RSRC2:USER_SGPR: 6
; COMPUTE_PGM_RSRC2:TRAP_HANDLER: 0
; COMPUTE_PGM_RSRC2:TGID_X_EN: 1
; COMPUTE_PGM_RSRC2:TGID_Y_EN: 0
; COMPUTE_PGM_RSRC2:TGID_Z_EN: 0
; COMPUTE_PGM_RSRC2:TIDIG_COMP_CNT: 1
; COMPUTE_PGM_RSRC3_GFX90A:ACCUM_OFFSET: 14
; COMPUTE_PGM_RSRC3_GFX90A:TG_SPLIT: 0
	.section	.text._Z16wvSplitK_hf_sml_I6__halfLi64ELi4ELi16ELi8ELi1ELi3EEviiPKT_S3_PS1_ii,"axG",@progbits,_Z16wvSplitK_hf_sml_I6__halfLi64ELi4ELi16ELi8ELi1ELi3EEviiPKT_S3_PS1_ii,comdat
	.protected	_Z16wvSplitK_hf_sml_I6__halfLi64ELi4ELi16ELi8ELi1ELi3EEviiPKT_S3_PS1_ii ; -- Begin function _Z16wvSplitK_hf_sml_I6__halfLi64ELi4ELi16ELi8ELi1ELi3EEviiPKT_S3_PS1_ii
	.globl	_Z16wvSplitK_hf_sml_I6__halfLi64ELi4ELi16ELi8ELi1ELi3EEviiPKT_S3_PS1_ii
	.p2align	8
	.type	_Z16wvSplitK_hf_sml_I6__halfLi64ELi4ELi16ELi8ELi1ELi3EEviiPKT_S3_PS1_ii,@function
_Z16wvSplitK_hf_sml_I6__halfLi64ELi4ELi16ELi8ELi1ELi3EEviiPKT_S3_PS1_ii: ; @_Z16wvSplitK_hf_sml_I6__halfLi64ELi4ELi16ELi8ELi1ELi3EEviiPKT_S3_PS1_ii
; %bb.0:
	s_load_dwordx2 s[8:9], s[4:5], 0x0
	v_and_b32_e32 v2, 0x3ff, v0
	v_bfe_u32 v3, v0, 10, 10
	v_lshlrev_b32_e32 v32, 3, v2
	s_mov_b32 s7, 0
	s_waitcnt lgkmcnt(0)
	s_cmp_lg_u32 s8, 0
	s_cselect_b64 s[2:3], -1, 0
	s_cmp_eq_u32 s8, 0
	s_cbranch_scc1 .LBB14_6
; %bb.1:
	s_load_dwordx2 s[0:1], s[4:5], 0x10
	s_mul_i32 s10, s8, 3
	v_lshlrev_b32_e32 v0, 4, v2
	s_min_i32 s16, s10, 0x8000
	v_lshl_add_u32 v4, v3, 10, v0
	v_lshl_add_u32 v5, v3, 9, v32
	s_mov_b64 s[10:11], 0
	v_mov_b32_e32 v1, 0
                                        ; implicit-def: $sgpr12_sgpr13
	s_branch .LBB14_3
.LBB14_2:                               ;   in Loop: Header=BB14_3 Depth=1
	s_or_b64 exec, exec, s[14:15]
	s_and_b64 s[14:15], exec, s[12:13]
	s_or_b64 s[10:11], s[14:15], s[10:11]
	s_andn2_b64 exec, exec, s[10:11]
	s_cbranch_execz .LBB14_5
.LBB14_3:                               ; =>This Inner Loop Header: Depth=1
	v_add_u32_e32 v0, s7, v5
	v_cmp_gt_u32_e32 vcc, s16, v0
	s_or_b64 s[12:13], s[12:13], exec
	s_and_saveexec_b64 s[14:15], vcc
	s_cbranch_execz .LBB14_2
; %bb.4:                                ;   in Loop: Header=BB14_3 Depth=1
	v_lshlrev_b64 v[6:7], 1, v[0:1]
	s_waitcnt lgkmcnt(0)
	v_mov_b32_e32 v0, s1
	v_add_co_u32_e32 v6, vcc, s0, v6
	v_addc_co_u32_e32 v7, vcc, v0, v7, vcc
	global_load_dwordx4 v[6:9], v[6:7], off
	s_addk_i32 s7, 0x2000
	s_cmp_ge_u32 s7, s16
	s_cselect_b64 s[18:19], -1, 0
	s_andn2_b64 s[12:13], s[12:13], exec
	s_and_b64 s[18:19], s[18:19], exec
	s_or_b64 s[12:13], s[12:13], s[18:19]
	s_waitcnt vmcnt(0)
	ds_write_b128 v4, v[6:9]
	v_add_u32_e32 v4, 0x4000, v4
	s_branch .LBB14_2
.LBB14_5:
	s_or_b64 exec, exec, s[10:11]
.LBB14_6:
	s_waitcnt lgkmcnt(0)
	s_load_dwordx2 s[0:1], s[4:5], 0x20
	s_waitcnt lgkmcnt(0)
	s_barrier
	v_cmp_gt_u32_e32 vcc, s0, v3
	s_and_saveexec_b64 s[10:11], vcc
	s_cbranch_execz .LBB14_17
; %bb.7:
	s_mul_i32 s6, s6, s0
	v_add_u32_e32 v0, s6, v3
	v_lshlrev_b32_e32 v24, 2, v0
	v_cmp_gt_u32_e32 vcc, s9, v24
	s_and_b64 exec, exec, vcc
	s_cbranch_execz .LBB14_17
; %bb.8:
	s_load_dwordx2 s[6:7], s[4:5], 0x8
	s_load_dwordx2 s[10:11], s[4:5], 0x18
	s_mul_i32 s12, s0, s1
	v_mul_lo_u32 v0, s8, v0
	s_lshl_b32 s16, s12, 2
	s_ashr_i32 s5, s8, 31
	s_mov_b32 s4, s8
	v_lshl_add_u32 v34, v0, 2, v32
	s_mul_i32 s12, s12, s8
	v_cndmask_b32_e64 v0, 0, 1, s[2:3]
	v_cmp_eq_u32_e64 s[0:1], 63, v2
	s_lshl_b64 s[4:5], s[4:5], 1
	s_lshl_b32 s17, s8, 2
	v_lshlrev_b32_e32 v33, 4, v2
	s_lshl_b32 s18, s8, 1
	s_lshl_b32 s19, s12, 2
	s_mov_b64 s[12:13], 0
	v_cmp_ne_u32_e64 s[2:3], 1, v0
	v_mov_b32_e32 v27, 0
	s_branch .LBB14_10
.LBB14_9:                               ;   in Loop: Header=BB14_10 Depth=1
	s_or_b64 exec, exec, s[14:15]
	v_add_u32_e32 v24, s16, v24
	v_cmp_le_u32_e32 vcc, s9, v24
	s_or_b64 s[12:13], vcc, s[12:13]
	v_add_u32_e32 v34, s19, v34
	s_andn2_b64 exec, exec, s[12:13]
	s_cbranch_execz .LBB14_17
.LBB14_10:                              ; =>This Loop Header: Depth=1
                                        ;     Child Loop BB14_13 Depth 2
	s_mov_b32 s20, 0
	s_and_b64 vcc, exec, s[2:3]
	v_mov_b32_e32 v35, v27
	v_mov_b32_e32 v36, v27
	;; [unrolled: 1-line block ×12, first 2 shown]
	s_cbranch_vccnz .LBB14_15
; %bb.11:                               ;   in Loop: Header=BB14_10 Depth=1
	v_mov_b32_e32 v25, 0
	v_mov_b32_e32 v46, v33
	;; [unrolled: 1-line block ×13, first 2 shown]
	s_branch .LBB14_13
.LBB14_12:                              ;   in Loop: Header=BB14_13 Depth=2
	s_or_b64 exec, exec, s[14:15]
	s_addk_i32 s20, 0x200
	s_cmp_ge_u32 s20, s8
	v_add_u32_e32 v46, 0x400, v46
	s_cbranch_scc1 .LBB14_15
.LBB14_13:                              ;   Parent Loop BB14_10 Depth=1
                                        ; =>  This Inner Loop Header: Depth=2
	v_add_u32_e32 v0, s20, v32
	v_cmp_gt_u32_e32 vcc, s8, v0
	s_and_saveexec_b64 s[14:15], vcc
	s_cbranch_execz .LBB14_12
; %bb.14:                               ;   in Loop: Header=BB14_13 Depth=2
	v_add_u32_e32 v26, s20, v34
	v_lshlrev_b64 v[0:1], 1, v[26:27]
	s_waitcnt lgkmcnt(0)
	v_mov_b32_e32 v2, s7
	v_add_co_u32_e32 v0, vcc, s6, v0
	v_addc_co_u32_e32 v1, vcc, v2, v1, vcc
	global_load_dwordx4 v[20:23], v[0:1], off glc slc
	v_mov_b32_e32 v2, s5
	v_add_co_u32_e32 v0, vcc, s4, v0
	v_addc_co_u32_e32 v1, vcc, v1, v2, vcc
	global_load_dwordx4 v[12:15], v[0:1], off glc slc
	v_add_co_u32_e32 v0, vcc, s4, v0
	v_addc_co_u32_e32 v1, vcc, v1, v2, vcc
	global_load_dwordx4 v[4:7], v[0:1], off glc slc
	v_add_co_u32_e32 v0, vcc, s4, v0
	v_addc_co_u32_e32 v1, vcc, v1, v2, vcc
	v_add_u32_e32 v16, s18, v46
	global_load_dwordx4 v[0:3], v[0:1], off glc slc
	ds_read_b128 v[8:11], v46
	v_add_u32_e32 v26, s17, v46
	ds_read_b128 v[16:19], v16
	ds_read2_b32 v[30:31], v26 offset1:1
	ds_read2_b32 v[28:29], v26 offset0:2 offset1:3
	s_waitcnt vmcnt(3) lgkmcnt(3)
	;;#ASMSTART
	v_dot2c_f32_f16 v25, v8, v20
	;;#ASMEND
	s_waitcnt lgkmcnt(2)
	;;#ASMSTART
	v_dot2c_f32_f16 v42, v16, v20
	;;#ASMEND
	s_waitcnt lgkmcnt(1)
	;;#ASMSTART
	v_dot2c_f32_f16 v38, v30, v20
	;;#ASMEND
	s_waitcnt vmcnt(2)
	;;#ASMSTART
	v_dot2c_f32_f16 v45, v8, v12
	;;#ASMEND
	;;#ASMSTART
	v_dot2c_f32_f16 v41, v16, v12
	;;#ASMEND
	;;#ASMSTART
	v_dot2c_f32_f16 v37, v30, v12
	;;#ASMEND
	s_waitcnt vmcnt(1)
	;;#ASMSTART
	v_dot2c_f32_f16 v44, v8, v4
	;;#ASMEND
	;;#ASMSTART
	v_dot2c_f32_f16 v40, v16, v4
	;;#ASMEND
	;; [unrolled: 10-line block ×3, first 2 shown]
	;;#ASMSTART
	v_dot2c_f32_f16 v35, v30, v0
	;;#ASMEND
	;;#ASMSTART
	v_dot2c_f32_f16 v25, v9, v21
	;;#ASMEND
	;; [unrolled: 3-line block ×15, first 2 shown]
	s_waitcnt lgkmcnt(0)
	;;#ASMSTART
	v_dot2c_f32_f16 v38, v28, v22
	;;#ASMEND
	;;#ASMSTART
	v_dot2c_f32_f16 v45, v10, v14
	;;#ASMEND
	;; [unrolled: 3-line block ×22, first 2 shown]
	s_branch .LBB14_12
.LBB14_15:                              ;   in Loop: Header=BB14_10 Depth=1
	;;#ASMSTART
	s_nop 0
	v_add_f32 v25, v25, v25 row_shr:8 bound_ctrl:0 
	;;#ASMEND
	;;#ASMSTART
	s_nop 0
	v_add_f32 v45, v45, v45 row_shr:8 bound_ctrl:0 
	;;#ASMEND
	;; [unrolled: 4-line block ×36, first 2 shown]
	;;#ASMSTART
	s_nop 0
	v_add_f32 v25, v25, v25 wave_shr:1 bound_ctrl:0
	;;#ASMEND
	;;#ASMSTART
	s_nop 0
	v_add_f32 v45, v45, v45 wave_shr:1 bound_ctrl:0
	;;#ASMEND
	;; [unrolled: 4-line block ×12, first 2 shown]
	;;#ASMSTART
	s_nop 0
	v_add_f32 v25, v25, v25 row_bcast:15 bound_ctrl:0
	;;#ASMEND
	;;#ASMSTART
	s_nop 0
	v_add_f32 v45, v45, v45 row_bcast:15 bound_ctrl:0
	;;#ASMEND
	;; [unrolled: 4-line block ×24, first 2 shown]
	s_and_saveexec_b64 s[14:15], s[0:1]
	s_cbranch_execz .LBB14_9
; %bb.16:                               ;   in Loop: Header=BB14_10 Depth=1
	v_cvt_f16_f32_e32 v2, v25
	v_cvt_f16_f32_e32 v5, v45
	;; [unrolled: 1-line block ×4, first 2 shown]
	v_mov_b32_e32 v25, v27
	v_lshlrev_b64 v[0:1], 1, v[24:25]
	s_waitcnt lgkmcnt(0)
	v_mov_b32_e32 v4, s11
	v_add_co_u32_e32 v0, vcc, s10, v0
	v_addc_co_u32_e32 v1, vcc, v4, v1, vcc
	v_pack_b32_f16 v3, v3, v6
	v_pack_b32_f16 v2, v2, v5
	global_store_dwordx2 v[0:1], v[2:3], off
	v_add_u32_e32 v26, s9, v24
	v_cvt_f16_f32_e32 v2, v42
	v_lshlrev_b64 v[0:1], 1, v[26:27]
	v_add_co_u32_e32 v0, vcc, s10, v0
	v_addc_co_u32_e32 v1, vcc, v4, v1, vcc
	global_store_short v[0:1], v2, off
	v_cvt_f16_f32_e32 v2, v41
	v_add_u32_e32 v0, 1, v26
	v_mov_b32_e32 v1, v27
	v_lshlrev_b64 v[0:1], 1, v[0:1]
	v_add_co_u32_e32 v0, vcc, s10, v0
	v_addc_co_u32_e32 v1, vcc, v4, v1, vcc
	global_store_short v[0:1], v2, off
	v_cvt_f16_f32_e32 v2, v40
	v_add_u32_e32 v0, 2, v26
	v_mov_b32_e32 v1, v27
	v_lshlrev_b64 v[0:1], 1, v[0:1]
	v_add_co_u32_e32 v0, vcc, s10, v0
	v_addc_co_u32_e32 v1, vcc, v4, v1, vcc
	global_store_short v[0:1], v2, off
	v_cvt_f16_f32_e32 v2, v39
	v_add_u32_e32 v0, 3, v26
	v_mov_b32_e32 v1, v27
	v_lshlrev_b64 v[0:1], 1, v[0:1]
	v_add_co_u32_e32 v0, vcc, s10, v0
	v_addc_co_u32_e32 v1, vcc, v4, v1, vcc
	global_store_short v[0:1], v2, off
	v_cvt_f16_f32_e32 v2, v38
	v_cvt_f16_f32_e32 v3, v37
	v_add_u32_e32 v26, s9, v26
	v_lshlrev_b64 v[0:1], 1, v[26:27]
	v_add_co_u32_e32 v0, vcc, s10, v0
	v_addc_co_u32_e32 v1, vcc, v4, v1, vcc
	v_pack_b32_f16 v2, v2, v3
	global_store_dword v[0:1], v2, off
	v_cvt_f16_f32_e32 v2, v36
	v_add_u32_e32 v0, 2, v26
	v_mov_b32_e32 v1, v27
	v_lshlrev_b64 v[0:1], 1, v[0:1]
	v_add_co_u32_e32 v0, vcc, s10, v0
	v_addc_co_u32_e32 v1, vcc, v4, v1, vcc
	global_store_short v[0:1], v2, off
	v_cvt_f16_f32_e32 v2, v35
	v_add_u32_e32 v26, 3, v26
	v_lshlrev_b64 v[0:1], 1, v[26:27]
	v_add_co_u32_e32 v0, vcc, s10, v0
	v_addc_co_u32_e32 v1, vcc, v4, v1, vcc
	global_store_short v[0:1], v2, off
	s_branch .LBB14_9
.LBB14_17:
	s_endpgm
	.section	.rodata,"a",@progbits
	.p2align	6, 0x0
	.amdhsa_kernel _Z16wvSplitK_hf_sml_I6__halfLi64ELi4ELi16ELi8ELi1ELi3EEviiPKT_S3_PS1_ii
		.amdhsa_group_segment_fixed_size 65536
		.amdhsa_private_segment_fixed_size 0
		.amdhsa_kernarg_size 40
		.amdhsa_user_sgpr_count 6
		.amdhsa_user_sgpr_private_segment_buffer 1
		.amdhsa_user_sgpr_dispatch_ptr 0
		.amdhsa_user_sgpr_queue_ptr 0
		.amdhsa_user_sgpr_kernarg_segment_ptr 1
		.amdhsa_user_sgpr_dispatch_id 0
		.amdhsa_user_sgpr_flat_scratch_init 0
		.amdhsa_user_sgpr_kernarg_preload_length 0
		.amdhsa_user_sgpr_kernarg_preload_offset 0
		.amdhsa_user_sgpr_private_segment_size 0
		.amdhsa_uses_dynamic_stack 0
		.amdhsa_system_sgpr_private_segment_wavefront_offset 0
		.amdhsa_system_sgpr_workgroup_id_x 1
		.amdhsa_system_sgpr_workgroup_id_y 0
		.amdhsa_system_sgpr_workgroup_id_z 0
		.amdhsa_system_sgpr_workgroup_info 0
		.amdhsa_system_vgpr_workitem_id 1
		.amdhsa_next_free_vgpr 47
		.amdhsa_next_free_sgpr 21
		.amdhsa_accum_offset 48
		.amdhsa_reserve_vcc 1
		.amdhsa_reserve_flat_scratch 0
		.amdhsa_float_round_mode_32 0
		.amdhsa_float_round_mode_16_64 0
		.amdhsa_float_denorm_mode_32 3
		.amdhsa_float_denorm_mode_16_64 3
		.amdhsa_dx10_clamp 1
		.amdhsa_ieee_mode 1
		.amdhsa_fp16_overflow 0
		.amdhsa_tg_split 0
		.amdhsa_exception_fp_ieee_invalid_op 0
		.amdhsa_exception_fp_denorm_src 0
		.amdhsa_exception_fp_ieee_div_zero 0
		.amdhsa_exception_fp_ieee_overflow 0
		.amdhsa_exception_fp_ieee_underflow 0
		.amdhsa_exception_fp_ieee_inexact 0
		.amdhsa_exception_int_div_zero 0
	.end_amdhsa_kernel
	.section	.text._Z16wvSplitK_hf_sml_I6__halfLi64ELi4ELi16ELi8ELi1ELi3EEviiPKT_S3_PS1_ii,"axG",@progbits,_Z16wvSplitK_hf_sml_I6__halfLi64ELi4ELi16ELi8ELi1ELi3EEviiPKT_S3_PS1_ii,comdat
.Lfunc_end14:
	.size	_Z16wvSplitK_hf_sml_I6__halfLi64ELi4ELi16ELi8ELi1ELi3EEviiPKT_S3_PS1_ii, .Lfunc_end14-_Z16wvSplitK_hf_sml_I6__halfLi64ELi4ELi16ELi8ELi1ELi3EEviiPKT_S3_PS1_ii
                                        ; -- End function
	.section	.AMDGPU.csdata,"",@progbits
; Kernel info:
; codeLenInByte = 2608
; NumSgprs: 25
; NumVgprs: 47
; NumAgprs: 0
; TotalNumVgprs: 47
; ScratchSize: 0
; MemoryBound: 0
; FloatMode: 240
; IeeeMode: 1
; LDSByteSize: 65536 bytes/workgroup (compile time only)
; SGPRBlocks: 3
; VGPRBlocks: 5
; NumSGPRsForWavesPerEU: 25
; NumVGPRsForWavesPerEU: 47
; AccumOffset: 48
; Occupancy: 4
; WaveLimiterHint : 0
; COMPUTE_PGM_RSRC2:SCRATCH_EN: 0
; COMPUTE_PGM_RSRC2:USER_SGPR: 6
; COMPUTE_PGM_RSRC2:TRAP_HANDLER: 0
; COMPUTE_PGM_RSRC2:TGID_X_EN: 1
; COMPUTE_PGM_RSRC2:TGID_Y_EN: 0
; COMPUTE_PGM_RSRC2:TGID_Z_EN: 0
; COMPUTE_PGM_RSRC2:TIDIG_COMP_CNT: 1
; COMPUTE_PGM_RSRC3_GFX90A:ACCUM_OFFSET: 11
; COMPUTE_PGM_RSRC3_GFX90A:TG_SPLIT: 0
	.section	.text._Z12wvSplitK_hf_I6__halfLi64ELi7ELi16ELi8ELi1ELi3EEviiPKT_S3_PS1_ii,"axG",@progbits,_Z12wvSplitK_hf_I6__halfLi64ELi7ELi16ELi8ELi1ELi3EEviiPKT_S3_PS1_ii,comdat
	.protected	_Z12wvSplitK_hf_I6__halfLi64ELi7ELi16ELi8ELi1ELi3EEviiPKT_S3_PS1_ii ; -- Begin function _Z12wvSplitK_hf_I6__halfLi64ELi7ELi16ELi8ELi1ELi3EEviiPKT_S3_PS1_ii
	.globl	_Z12wvSplitK_hf_I6__halfLi64ELi7ELi16ELi8ELi1ELi3EEviiPKT_S3_PS1_ii
	.p2align	8
	.type	_Z12wvSplitK_hf_I6__halfLi64ELi7ELi16ELi8ELi1ELi3EEviiPKT_S3_PS1_ii,@function
_Z12wvSplitK_hf_I6__halfLi64ELi7ELi16ELi8ELi1ELi3EEviiPKT_S3_PS1_ii: ; @_Z12wvSplitK_hf_I6__halfLi64ELi7ELi16ELi8ELi1ELi3EEviiPKT_S3_PS1_ii
; %bb.0:
	s_load_dwordx2 s[2:3], s[4:5], 0x20
	s_load_dwordx2 s[18:19], s[4:5], 0x0
	;; [unrolled: 1-line block ×3, first 2 shown]
	v_bfe_u32 v11, v0, 10, 10
	s_mov_b32 s8, 1
	s_waitcnt lgkmcnt(0)
	s_mul_i32 s6, s6, s2
	v_add_u32_e32 v1, s6, v11
	v_mul_lo_u32 v50, v1, 7
	v_add_u32_e32 v1, 7, v50
	v_cmp_gt_u32_e32 vcc, s19, v50
	v_cmp_le_u32_e64 s[0:1], s19, v1
	s_mov_b32 s9, s8
	s_mov_b32 s10, s8
	;; [unrolled: 1-line block ×6, first 2 shown]
	v_mov_b32_e32 v2, s8
	s_and_b64 s[6:7], vcc, s[0:1]
	v_mov_b32_e32 v3, s9
	v_mov_b32_e32 v4, s10
	;; [unrolled: 1-line block ×6, first 2 shown]
	s_and_saveexec_b64 s[0:1], s[6:7]
	s_cbranch_execz .LBB15_6
; %bb.1:
	s_add_i32 s15, s19, -7
	v_mov_b32_e32 v2, s8
	v_cmp_ne_u32_e32 vcc, s15, v50
	v_mov_b32_e32 v3, s9
	v_mov_b32_e32 v4, s10
	;; [unrolled: 1-line block ×6, first 2 shown]
	s_and_saveexec_b64 s[6:7], vcc
	s_cbranch_execz .LBB15_5
; %bb.2:
	v_subrev_u32_e32 v1, s15, v50
	v_cmp_lt_u32_e32 vcc, 1, v1
	v_cndmask_b32_e32 v10, 1, v1, vcc
	s_mov_b64 s[16:17], 0
	s_mov_b64 s[22:23], 0
	s_mov_b32 s9, s8
	s_mov_b32 s10, s8
	;; [unrolled: 1-line block ×6, first 2 shown]
.LBB15_3:                               ; =>This Inner Loop Header: Depth=1
	s_cmp_lg_u32 s22, 6
	s_cselect_b32 s14, s14, 0
	s_cmp_lg_u32 s22, 5
	s_cselect_b32 s13, s13, 0
	;; [unrolled: 2-line block ×7, first 2 shown]
	s_add_u32 s22, s22, 1
	s_addc_u32 s23, s23, 0
	v_cmp_eq_u32_e32 vcc, s22, v10
	v_mov_b32_e32 v2, s8
	s_or_b64 s[16:17], vcc, s[16:17]
	v_mov_b32_e32 v3, s9
	v_mov_b32_e32 v4, s10
	;; [unrolled: 1-line block ×6, first 2 shown]
	s_andn2_b64 exec, exec, s[16:17]
	s_cbranch_execnz .LBB15_3
; %bb.4:
	s_or_b64 exec, exec, s[16:17]
	v_mov_b32_e32 v50, s15
.LBB15_5:
	s_or_b64 exec, exec, s[6:7]
.LBB15_6:
	s_or_b64 exec, exec, s[0:1]
	v_and_b32_e32 v10, 0x3ff, v0
	s_cmp_lg_u32 s18, 0
	v_lshlrev_b32_e32 v9, 3, v10
	s_cselect_b64 s[6:7], -1, 0
	s_cmp_eq_u32 s18, 0
	s_mov_b32 s12, 0
	s_cbranch_scc1 .LBB15_12
; %bb.7:
	s_mul_i32 s0, s18, 3
	v_lshlrev_b32_e32 v0, 4, v10
	s_min_i32 s13, s0, 0x8000
	v_lshl_add_u32 v12, v11, 10, v0
	v_lshl_add_u32 v13, v11, 9, v9
	s_mov_b64 s[0:1], 0
	v_mov_b32_e32 v1, 0
                                        ; implicit-def: $sgpr8_sgpr9
	s_branch .LBB15_9
.LBB15_8:                               ;   in Loop: Header=BB15_9 Depth=1
	s_or_b64 exec, exec, s[10:11]
	s_and_b64 s[10:11], exec, s[8:9]
	s_or_b64 s[0:1], s[10:11], s[0:1]
	s_andn2_b64 exec, exec, s[0:1]
	s_cbranch_execz .LBB15_11
.LBB15_9:                               ; =>This Inner Loop Header: Depth=1
	v_add_u32_e32 v0, s12, v13
	v_cmp_gt_u32_e32 vcc, s13, v0
	s_or_b64 s[8:9], s[8:9], exec
	s_and_saveexec_b64 s[10:11], vcc
	s_cbranch_execz .LBB15_8
; %bb.10:                               ;   in Loop: Header=BB15_9 Depth=1
	v_lshlrev_b64 v[14:15], 1, v[0:1]
	v_mov_b32_e32 v0, s21
	v_add_co_u32_e32 v14, vcc, s20, v14
	v_addc_co_u32_e32 v15, vcc, v0, v15, vcc
	global_load_dwordx4 v[14:17], v[14:15], off
	s_addk_i32 s12, 0x2000
	s_cmp_ge_u32 s12, s13
	s_cselect_b64 s[14:15], -1, 0
	s_andn2_b64 s[8:9], s[8:9], exec
	s_and_b64 s[14:15], s[14:15], exec
	s_or_b64 s[8:9], s[8:9], s[14:15]
	s_waitcnt vmcnt(0)
	ds_write_b128 v12, v[14:17]
	v_add_u32_e32 v12, 0x4000, v12
	s_branch .LBB15_8
.LBB15_11:
	s_or_b64 exec, exec, s[0:1]
.LBB15_12:
	v_cmp_gt_u32_e32 vcc, s2, v11
	v_cmp_gt_u32_e64 s[0:1], s19, v50
	s_and_b64 s[0:1], vcc, s[0:1]
	s_waitcnt lgkmcnt(0)
	s_barrier
	s_and_saveexec_b64 s[8:9], s[0:1]
	s_cbranch_execz .LBB15_88
; %bb.13:
	s_load_dwordx2 s[22:23], s[4:5], 0x8
	s_load_dwordx2 s[24:25], s[4:5], 0x18
	s_mul_i32 s33, s2, s3
	s_ashr_i32 s3, s18, 31
	s_mov_b32 s2, s18
	v_cndmask_b32_e64 v0, 0, 1, s[6:7]
	v_cmp_eq_u32_e64 s[0:1], 63, v10
	s_mul_i32 s33, s33, 7
	s_add_i32 s36, s19, -7
	s_lshl_b64 s[26:27], s[2:3], 1
	s_mov_b64 s[28:29], 0
	v_cmp_ne_u32_e64 s[2:3], 1, v0
	v_mov_b32_e32 v1, 0
	s_movk_i32 s37, 0x7fff
                                        ; implicit-def: $vgpr34_vgpr35_vgpr36_vgpr37
                                        ; implicit-def: $vgpr30_vgpr31_vgpr32_vgpr33
                                        ; implicit-def: $vgpr26_vgpr27_vgpr28_vgpr29
                                        ; implicit-def: $vgpr22_vgpr23_vgpr24_vgpr25
                                        ; implicit-def: $vgpr18_vgpr19_vgpr20_vgpr21
                                        ; implicit-def: $vgpr14_vgpr15_vgpr16_vgpr17
                                        ; implicit-def: $vgpr10_vgpr11_vgpr12_vgpr13
                                        ; implicit-def: $vgpr40_vgpr41
                                        ; implicit-def: $vgpr44_vgpr45
                                        ; implicit-def: $vgpr48_vgpr49
	s_branch .LBB15_16
.LBB15_14:                              ;   in Loop: Header=BB15_16 Depth=1
	s_or_b64 exec, exec, s[8:9]
	v_mov_b32_e32 v50, s36
.LBB15_15:                              ;   in Loop: Header=BB15_16 Depth=1
	s_or_b64 exec, exec, s[6:7]
	v_cmp_le_u32_e32 vcc, s19, v50
	s_or_b64 s[28:29], vcc, s[28:29]
	s_andn2_b64 exec, exec, s[28:29]
	s_cbranch_execz .LBB15_88
.LBB15_16:                              ; =>This Loop Header: Depth=1
                                        ;     Child Loop BB15_19 Depth 2
                                        ;     Child Loop BB15_66 Depth 2
	s_and_b64 vcc, exec, s[2:3]
	s_mov_b32 s10, 0
	s_cbranch_vccnz .LBB15_39
; %bb.17:                               ;   in Loop: Header=BB15_16 Depth=1
	v_mul_lo_u32 v74, v50, s18
	v_mov_b32_e32 v54, 0
	v_mov_b32_e32 v55, 0
	;; [unrolled: 1-line block ×21, first 2 shown]
	s_branch .LBB15_19
.LBB15_18:                              ;   in Loop: Header=BB15_19 Depth=2
	s_or_b64 exec, exec, s[4:5]
	s_addk_i32 s10, 0x200
	s_cmp_ge_u32 s10, s18
	s_cbranch_scc1 .LBB15_40
.LBB15_19:                              ;   Parent Loop BB15_16 Depth=1
                                        ; =>  This Inner Loop Header: Depth=2
	v_add_u32_e32 v52, s10, v9
	v_cmp_gt_u32_e32 vcc, s18, v52
	s_and_saveexec_b64 s[6:7], vcc
	s_cbranch_execnz .LBB15_23
; %bb.20:                               ;   in Loop: Header=BB15_19 Depth=2
	s_or_b64 exec, exec, s[6:7]
	s_and_saveexec_b64 s[4:5], vcc
	s_cbranch_execnz .LBB15_36
.LBB15_21:                              ;   in Loop: Header=BB15_19 Depth=2
	s_or_b64 exec, exec, s[4:5]
	s_and_saveexec_b64 s[4:5], vcc
	s_cbranch_execnz .LBB15_37
.LBB15_22:                              ;   in Loop: Header=BB15_19 Depth=2
	s_or_b64 exec, exec, s[4:5]
	s_and_saveexec_b64 s[4:5], vcc
	s_cbranch_execz .LBB15_18
	s_branch .LBB15_38
.LBB15_23:                              ;   in Loop: Header=BB15_19 Depth=2
	v_add_u32_e32 v0, v52, v74
	s_waitcnt vmcnt(6)
	v_lshlrev_b64 v[10:11], 1, v[0:1]
	s_waitcnt lgkmcnt(0)
	v_mov_b32_e32 v0, s23
	s_waitcnt vmcnt(4)
	v_add_co_u32_e64 v18, s[4:5], s22, v10
	v_addc_co_u32_e64 v19, s[4:5], v0, v11, s[4:5]
	v_mov_b32_e32 v0, s27
	v_add_co_u32_e64 v20, s[4:5], s26, v18
	v_addc_co_u32_e64 v21, s[4:5], v19, v0, s[4:5]
	s_waitcnt vmcnt(2)
	v_add_co_u32_e64 v26, s[4:5], s26, v20
	v_addc_co_u32_e64 v27, s[4:5], v21, v0, s[4:5]
	v_add_co_u32_e64 v28, s[4:5], s26, v26
	v_addc_co_u32_e64 v29, s[4:5], v27, v0, s[4:5]
	s_waitcnt vmcnt(0)
	v_add_co_u32_e64 v34, s[4:5], s26, v28
	v_addc_co_u32_e64 v35, s[4:5], v29, v0, s[4:5]
	v_add_co_u32_e64 v36, s[4:5], s26, v34
	v_addc_co_u32_e64 v37, s[4:5], v35, v0, s[4:5]
	global_load_dwordx4 v[10:13], v[18:19], off glc slc
	global_load_dwordx4 v[14:17], v[20:21], off glc slc
	s_nop 0
	global_load_dwordx4 v[18:21], v[26:27], off glc slc
	global_load_dwordx4 v[22:25], v[28:29], off glc slc
	s_nop 0
	global_load_dwordx4 v[26:29], v[34:35], off glc slc
	global_load_dwordx4 v[30:33], v[36:37], off glc slc
	v_add_co_u32_e64 v34, s[4:5], s26, v36
	v_addc_co_u32_e64 v35, s[4:5], v37, v0, s[4:5]
	global_load_dwordx4 v[34:37], v[34:35], off glc slc
	v_cmp_lt_u32_e64 s[4:5], s37, v52
                                        ; implicit-def: $vgpr38_vgpr39
	s_and_saveexec_b64 s[8:9], s[4:5]
	s_xor_b64 s[8:9], exec, s[8:9]
	s_cbranch_execz .LBB15_25
; %bb.24:                               ;   in Loop: Header=BB15_19 Depth=2
	v_mov_b32_e32 v53, v1
	v_lshlrev_b64 v[38:39], 1, v[52:53]
	v_mov_b32_e32 v0, s21
	v_add_co_u32_e64 v38, s[4:5], s20, v38
	v_addc_co_u32_e64 v39, s[4:5], v0, v39, s[4:5]
	global_load_dwordx4 v[38:41], v[38:39], off
.LBB15_25:                              ;   in Loop: Header=BB15_19 Depth=2
	s_andn2_saveexec_b64 s[4:5], s[8:9]
	s_cbranch_execz .LBB15_27
; %bb.26:                               ;   in Loop: Header=BB15_19 Depth=2
	v_lshlrev_b32_e32 v0, 1, v52
	s_waitcnt vmcnt(0)
	ds_read_b128 v[38:41], v0
.LBB15_27:                              ;   in Loop: Header=BB15_19 Depth=2
	s_or_b64 exec, exec, s[4:5]
	v_add_u32_e32 v0, s18, v52
	v_cmp_lt_u32_e64 s[4:5], s37, v0
                                        ; implicit-def: $vgpr42_vgpr43
	s_and_saveexec_b64 s[8:9], s[4:5]
	s_xor_b64 s[8:9], exec, s[8:9]
	s_cbranch_execz .LBB15_29
; %bb.28:                               ;   in Loop: Header=BB15_19 Depth=2
	v_lshlrev_b64 v[42:43], 1, v[0:1]
	v_mov_b32_e32 v44, s21
	v_add_co_u32_e64 v42, s[4:5], s20, v42
	v_addc_co_u32_e64 v43, s[4:5], v44, v43, s[4:5]
	global_load_dwordx4 v[42:45], v[42:43], off
.LBB15_29:                              ;   in Loop: Header=BB15_19 Depth=2
	s_andn2_saveexec_b64 s[4:5], s[8:9]
	s_cbranch_execz .LBB15_31
; %bb.30:                               ;   in Loop: Header=BB15_19 Depth=2
	s_waitcnt vmcnt(0)
	v_lshlrev_b32_e32 v42, 1, v0
	ds_read_b128 v[42:45], v42
.LBB15_31:                              ;   in Loop: Header=BB15_19 Depth=2
	s_or_b64 exec, exec, s[4:5]
	v_add_u32_e32 v0, s18, v0
	v_cmp_lt_u32_e64 s[4:5], s37, v0
                                        ; implicit-def: $vgpr46_vgpr47
	s_and_saveexec_b64 s[8:9], s[4:5]
	s_xor_b64 s[8:9], exec, s[8:9]
	s_cbranch_execz .LBB15_33
; %bb.32:                               ;   in Loop: Header=BB15_19 Depth=2
	v_lshlrev_b64 v[46:47], 1, v[0:1]
	v_mov_b32_e32 v0, s21
	v_add_co_u32_e64 v46, s[4:5], s20, v46
	v_addc_co_u32_e64 v47, s[4:5], v0, v47, s[4:5]
	global_load_dwordx4 v[46:49], v[46:47], off
.LBB15_33:                              ;   in Loop: Header=BB15_19 Depth=2
	s_andn2_saveexec_b64 s[4:5], s[8:9]
	s_cbranch_execz .LBB15_35
; %bb.34:                               ;   in Loop: Header=BB15_19 Depth=2
	v_lshlrev_b32_e32 v0, 1, v0
	s_waitcnt vmcnt(0)
	ds_read2_b32 v[46:47], v0 offset1:1
	ds_read2_b32 v[48:49], v0 offset0:2 offset1:3
.LBB15_35:                              ;   in Loop: Header=BB15_19 Depth=2
	s_or_b64 exec, exec, s[4:5]
	s_or_b64 exec, exec, s[6:7]
	s_and_saveexec_b64 s[4:5], vcc
	s_cbranch_execz .LBB15_21
.LBB15_36:                              ;   in Loop: Header=BB15_19 Depth=2
	s_waitcnt vmcnt(0) lgkmcnt(0)
	;;#ASMSTART
	v_dot2c_f32_f16 v51, v38, v10
	;;#ASMEND
	;;#ASMSTART
	v_dot2c_f32_f16 v73, v38, v14
	;;#ASMEND
	;; [unrolled: 3-line block ×28, first 2 shown]
	s_or_b64 exec, exec, s[4:5]
	s_and_saveexec_b64 s[4:5], vcc
	s_cbranch_execz .LBB15_22
.LBB15_37:                              ;   in Loop: Header=BB15_19 Depth=2
	s_waitcnt vmcnt(0) lgkmcnt(0)
	;;#ASMSTART
	v_dot2c_f32_f16 v67, v42, v10
	;;#ASMEND
	;;#ASMSTART
	v_dot2c_f32_f16 v66, v42, v14
	;;#ASMEND
	;; [unrolled: 3-line block ×28, first 2 shown]
	s_or_b64 exec, exec, s[4:5]
	s_and_saveexec_b64 s[4:5], vcc
	s_cbranch_execz .LBB15_18
.LBB15_38:                              ;   in Loop: Header=BB15_19 Depth=2
	s_waitcnt vmcnt(0) lgkmcnt(0)
	;;#ASMSTART
	v_dot2c_f32_f16 v60, v46, v10
	;;#ASMEND
	;;#ASMSTART
	v_dot2c_f32_f16 v59, v46, v14
	;;#ASMEND
	;; [unrolled: 3-line block ×28, first 2 shown]
	s_branch .LBB15_18
.LBB15_39:                              ;   in Loop: Header=BB15_16 Depth=1
	v_mov_b32_e32 v51, v1
	v_mov_b32_e32 v73, v1
	;; [unrolled: 1-line block ×21, first 2 shown]
.LBB15_40:                              ;   in Loop: Header=BB15_16 Depth=1
	;;#ASMSTART
	s_nop 0
	v_add_f32 v51, v51, v51 row_shr:8 bound_ctrl:0 
	;;#ASMEND
	;;#ASMSTART
	s_nop 0
	v_add_f32 v73, v73, v73 row_shr:8 bound_ctrl:0 
	;;#ASMEND
	;; [unrolled: 4-line block ×63, first 2 shown]
	;;#ASMSTART
	s_nop 0
	v_add_f32 v51, v51, v51 wave_shr:1 bound_ctrl:0
	;;#ASMEND
	;;#ASMSTART
	s_nop 0
	v_add_f32 v73, v73, v73 wave_shr:1 bound_ctrl:0
	;;#ASMEND
	;; [unrolled: 4-line block ×21, first 2 shown]
	;;#ASMSTART
	s_nop 0
	v_add_f32 v51, v51, v51 row_bcast:15 bound_ctrl:0
	;;#ASMEND
	;;#ASMSTART
	s_nop 0
	v_add_f32 v73, v73, v73 row_bcast:15 bound_ctrl:0
	;;#ASMEND
	;; [unrolled: 4-line block ×42, first 2 shown]
	s_and_saveexec_b64 s[30:31], s[0:1]
	s_cbranch_execz .LBB15_63
; %bb.41:                               ;   in Loop: Header=BB15_16 Depth=1
	v_cmp_ne_u32_e32 vcc, 0, v2
	s_and_saveexec_b64 s[6:7], vcc
	s_cbranch_execnz .LBB15_68
; %bb.42:                               ;   in Loop: Header=BB15_16 Depth=1
	s_or_b64 exec, exec, s[6:7]
	v_cmp_ne_u32_e64 s[4:5], 0, v3
	s_and_saveexec_b64 s[8:9], s[4:5]
	s_cbranch_execnz .LBB15_69
.LBB15_43:                              ;   in Loop: Header=BB15_16 Depth=1
	s_or_b64 exec, exec, s[8:9]
	v_cmp_ne_u32_e64 s[6:7], 0, v4
	s_and_saveexec_b64 s[10:11], s[6:7]
	s_cbranch_execnz .LBB15_70
.LBB15_44:                              ;   in Loop: Header=BB15_16 Depth=1
	s_or_b64 exec, exec, s[10:11]
	v_cmp_ne_u32_e64 s[8:9], 0, v5
	s_and_saveexec_b64 s[12:13], s[8:9]
	s_cbranch_execnz .LBB15_71
.LBB15_45:                              ;   in Loop: Header=BB15_16 Depth=1
	s_or_b64 exec, exec, s[12:13]
	v_cmp_ne_u32_e64 s[10:11], 0, v6
	s_and_saveexec_b64 s[14:15], s[10:11]
	s_cbranch_execnz .LBB15_72
.LBB15_46:                              ;   in Loop: Header=BB15_16 Depth=1
	s_or_b64 exec, exec, s[14:15]
	v_cmp_ne_u32_e64 s[12:13], 0, v7
	s_and_saveexec_b64 s[16:17], s[12:13]
	s_cbranch_execnz .LBB15_73
.LBB15_47:                              ;   in Loop: Header=BB15_16 Depth=1
	s_or_b64 exec, exec, s[16:17]
	v_cmp_ne_u32_e64 s[14:15], 0, v8
	s_and_saveexec_b64 s[34:35], s[14:15]
	s_cbranch_execnz .LBB15_74
.LBB15_48:                              ;   in Loop: Header=BB15_16 Depth=1
	s_or_b64 exec, exec, s[34:35]
	v_add_u32_e32 v0, s19, v50
	s_and_saveexec_b64 s[34:35], vcc
	s_cbranch_execnz .LBB15_75
.LBB15_49:                              ;   in Loop: Header=BB15_16 Depth=1
	s_or_b64 exec, exec, s[34:35]
	s_and_saveexec_b64 s[34:35], s[4:5]
	s_cbranch_execnz .LBB15_76
.LBB15_50:                              ;   in Loop: Header=BB15_16 Depth=1
	s_or_b64 exec, exec, s[34:35]
	s_and_saveexec_b64 s[34:35], s[6:7]
	s_cbranch_execnz .LBB15_77
.LBB15_51:                              ;   in Loop: Header=BB15_16 Depth=1
	s_or_b64 exec, exec, s[34:35]
	s_and_saveexec_b64 s[34:35], s[8:9]
	s_cbranch_execnz .LBB15_78
.LBB15_52:                              ;   in Loop: Header=BB15_16 Depth=1
	s_or_b64 exec, exec, s[34:35]
	s_and_saveexec_b64 s[34:35], s[10:11]
	s_cbranch_execnz .LBB15_79
.LBB15_53:                              ;   in Loop: Header=BB15_16 Depth=1
	s_or_b64 exec, exec, s[34:35]
	s_and_saveexec_b64 s[34:35], s[12:13]
	s_cbranch_execnz .LBB15_80
.LBB15_54:                              ;   in Loop: Header=BB15_16 Depth=1
	s_or_b64 exec, exec, s[34:35]
	s_and_saveexec_b64 s[34:35], s[14:15]
	s_cbranch_execnz .LBB15_81
.LBB15_55:                              ;   in Loop: Header=BB15_16 Depth=1
	s_or_b64 exec, exec, s[34:35]
	v_add_u32_e32 v0, s19, v0
	s_and_saveexec_b64 s[16:17], vcc
	s_cbranch_execnz .LBB15_82
.LBB15_56:                              ;   in Loop: Header=BB15_16 Depth=1
	s_or_b64 exec, exec, s[16:17]
	s_and_saveexec_b64 s[16:17], s[4:5]
	s_cbranch_execnz .LBB15_83
.LBB15_57:                              ;   in Loop: Header=BB15_16 Depth=1
	s_or_b64 exec, exec, s[16:17]
	s_and_saveexec_b64 s[4:5], s[6:7]
	s_cbranch_execnz .LBB15_84
.LBB15_58:                              ;   in Loop: Header=BB15_16 Depth=1
	s_or_b64 exec, exec, s[4:5]
	s_and_saveexec_b64 s[4:5], s[8:9]
	s_cbranch_execnz .LBB15_85
.LBB15_59:                              ;   in Loop: Header=BB15_16 Depth=1
	s_or_b64 exec, exec, s[4:5]
	s_and_saveexec_b64 s[4:5], s[10:11]
	s_cbranch_execnz .LBB15_86
.LBB15_60:                              ;   in Loop: Header=BB15_16 Depth=1
	s_or_b64 exec, exec, s[4:5]
	s_and_saveexec_b64 s[4:5], s[12:13]
	s_cbranch_execnz .LBB15_87
.LBB15_61:                              ;   in Loop: Header=BB15_16 Depth=1
	s_or_b64 exec, exec, s[4:5]
	s_and_b64 exec, exec, s[14:15]
	s_cbranch_execz .LBB15_63
.LBB15_62:                              ;   in Loop: Header=BB15_16 Depth=1
	v_cvt_f16_f32_e32 v51, v54
	v_add_u32_e32 v0, 6, v0
	v_lshlrev_b64 v[52:53], 1, v[0:1]
	s_waitcnt lgkmcnt(0)
	v_mov_b32_e32 v0, s25
	v_add_co_u32_e32 v52, vcc, s24, v52
	v_addc_co_u32_e32 v53, vcc, v0, v53, vcc
	global_store_short v[52:53], v51, off
.LBB15_63:                              ;   in Loop: Header=BB15_16 Depth=1
	s_or_b64 exec, exec, s[30:31]
	v_add_u32_e32 v50, s33, v50
	v_add_u32_e32 v0, 7, v50
	v_cmp_gt_u32_e32 vcc, s19, v50
	v_cmp_le_u32_e64 s[4:5], s19, v0
	s_and_b64 s[4:5], vcc, s[4:5]
	s_and_saveexec_b64 s[6:7], s[4:5]
	s_cbranch_execz .LBB15_15
; %bb.64:                               ;   in Loop: Header=BB15_16 Depth=1
	v_cmp_ne_u32_e32 vcc, s36, v50
	s_and_saveexec_b64 s[8:9], vcc
	s_cbranch_execz .LBB15_14
; %bb.65:                               ;   in Loop: Header=BB15_16 Depth=1
	v_subrev_u32_e32 v0, s36, v50
	v_cmp_lt_u32_e32 vcc, 1, v0
	v_cndmask_b32_e32 v0, 1, v0, vcc
	s_mov_b64 s[10:11], 0
	s_mov_b64 s[12:13], 0
.LBB15_66:                              ;   Parent Loop BB15_16 Depth=1
                                        ; =>  This Inner Loop Header: Depth=2
	s_cmp_lg_u32 s12, 6
	s_cselect_b64 vcc, -1, 0
	s_cmp_lg_u32 s12, 5
	v_cndmask_b32_e32 v8, 0, v8, vcc
	s_cselect_b64 vcc, -1, 0
	s_cmp_lg_u32 s12, 4
	v_cndmask_b32_e32 v7, 0, v7, vcc
	;; [unrolled: 3-line block ×6, first 2 shown]
	s_cselect_b64 vcc, -1, 0
	s_add_u32 s12, s12, 1
	s_addc_u32 s13, s13, 0
	v_cmp_eq_u32_e64 s[4:5], s12, v0
	s_or_b64 s[10:11], s[4:5], s[10:11]
	v_cndmask_b32_e32 v2, 0, v2, vcc
	s_andn2_b64 exec, exec, s[10:11]
	s_cbranch_execnz .LBB15_66
; %bb.67:                               ;   in Loop: Header=BB15_16 Depth=1
	s_or_b64 exec, exec, s[10:11]
	s_branch .LBB15_14
.LBB15_68:                              ;   in Loop: Header=BB15_16 Depth=1
	v_cvt_f16_f32_e32 v0, v51
	v_mov_b32_e32 v51, v1
	v_lshlrev_b64 v[52:53], 1, v[50:51]
	s_waitcnt lgkmcnt(0)
	v_mov_b32_e32 v51, s25
	v_add_co_u32_e64 v52, s[4:5], s24, v52
	v_addc_co_u32_e64 v53, s[4:5], v51, v53, s[4:5]
	global_store_short v[52:53], v0, off
	s_or_b64 exec, exec, s[6:7]
	v_cmp_ne_u32_e64 s[4:5], 0, v3
	s_and_saveexec_b64 s[8:9], s[4:5]
	s_cbranch_execz .LBB15_43
.LBB15_69:                              ;   in Loop: Header=BB15_16 Depth=1
	v_cvt_f16_f32_e32 v51, v73
	v_add_u32_e32 v0, 1, v50
	v_lshlrev_b64 v[52:53], 1, v[0:1]
	s_waitcnt lgkmcnt(0)
	v_mov_b32_e32 v0, s25
	v_add_co_u32_e64 v52, s[6:7], s24, v52
	v_addc_co_u32_e64 v53, s[6:7], v0, v53, s[6:7]
	global_store_short v[52:53], v51, off
	s_or_b64 exec, exec, s[8:9]
	v_cmp_ne_u32_e64 s[6:7], 0, v4
	s_and_saveexec_b64 s[10:11], s[6:7]
	s_cbranch_execz .LBB15_44
.LBB15_70:                              ;   in Loop: Header=BB15_16 Depth=1
	v_cvt_f16_f32_e32 v51, v72
	v_add_u32_e32 v0, 2, v50
	v_lshlrev_b64 v[52:53], 1, v[0:1]
	s_waitcnt lgkmcnt(0)
	v_mov_b32_e32 v0, s25
	v_add_co_u32_e64 v52, s[8:9], s24, v52
	v_addc_co_u32_e64 v53, s[8:9], v0, v53, s[8:9]
	global_store_short v[52:53], v51, off
	s_or_b64 exec, exec, s[10:11]
	v_cmp_ne_u32_e64 s[8:9], 0, v5
	s_and_saveexec_b64 s[12:13], s[8:9]
	s_cbranch_execz .LBB15_45
.LBB15_71:                              ;   in Loop: Header=BB15_16 Depth=1
	v_cvt_f16_f32_e32 v51, v71
	v_add_u32_e32 v0, 3, v50
	v_lshlrev_b64 v[52:53], 1, v[0:1]
	s_waitcnt lgkmcnt(0)
	v_mov_b32_e32 v0, s25
	v_add_co_u32_e64 v52, s[10:11], s24, v52
	v_addc_co_u32_e64 v53, s[10:11], v0, v53, s[10:11]
	global_store_short v[52:53], v51, off
	s_or_b64 exec, exec, s[12:13]
	v_cmp_ne_u32_e64 s[10:11], 0, v6
	s_and_saveexec_b64 s[14:15], s[10:11]
	s_cbranch_execz .LBB15_46
.LBB15_72:                              ;   in Loop: Header=BB15_16 Depth=1
	v_cvt_f16_f32_e32 v51, v70
	v_add_u32_e32 v0, 4, v50
	v_lshlrev_b64 v[52:53], 1, v[0:1]
	s_waitcnt lgkmcnt(0)
	v_mov_b32_e32 v0, s25
	v_add_co_u32_e64 v52, s[12:13], s24, v52
	v_addc_co_u32_e64 v53, s[12:13], v0, v53, s[12:13]
	global_store_short v[52:53], v51, off
	s_or_b64 exec, exec, s[14:15]
	v_cmp_ne_u32_e64 s[12:13], 0, v7
	s_and_saveexec_b64 s[16:17], s[12:13]
	s_cbranch_execz .LBB15_47
.LBB15_73:                              ;   in Loop: Header=BB15_16 Depth=1
	v_cvt_f16_f32_e32 v51, v69
	v_add_u32_e32 v0, 5, v50
	v_lshlrev_b64 v[52:53], 1, v[0:1]
	s_waitcnt lgkmcnt(0)
	v_mov_b32_e32 v0, s25
	v_add_co_u32_e64 v52, s[14:15], s24, v52
	v_addc_co_u32_e64 v53, s[14:15], v0, v53, s[14:15]
	global_store_short v[52:53], v51, off
	s_or_b64 exec, exec, s[16:17]
	v_cmp_ne_u32_e64 s[14:15], 0, v8
	s_and_saveexec_b64 s[34:35], s[14:15]
	s_cbranch_execz .LBB15_48
.LBB15_74:                              ;   in Loop: Header=BB15_16 Depth=1
	v_cvt_f16_f32_e32 v51, v68
	v_add_u32_e32 v0, 6, v50
	v_lshlrev_b64 v[52:53], 1, v[0:1]
	s_waitcnt lgkmcnt(0)
	v_mov_b32_e32 v0, s25
	v_add_co_u32_e64 v52, s[16:17], s24, v52
	v_addc_co_u32_e64 v53, s[16:17], v0, v53, s[16:17]
	global_store_short v[52:53], v51, off
	s_or_b64 exec, exec, s[34:35]
	v_add_u32_e32 v0, s19, v50
	s_and_saveexec_b64 s[34:35], vcc
	s_cbranch_execz .LBB15_49
.LBB15_75:                              ;   in Loop: Header=BB15_16 Depth=1
	v_cvt_f16_f32_e32 v51, v67
	v_lshlrev_b64 v[52:53], 1, v[0:1]
	s_waitcnt lgkmcnt(0)
	v_mov_b32_e32 v67, s25
	v_add_co_u32_e64 v52, s[16:17], s24, v52
	v_addc_co_u32_e64 v53, s[16:17], v67, v53, s[16:17]
	global_store_short v[52:53], v51, off
	s_or_b64 exec, exec, s[34:35]
	s_and_saveexec_b64 s[34:35], s[4:5]
	s_cbranch_execz .LBB15_50
.LBB15_76:                              ;   in Loop: Header=BB15_16 Depth=1
	v_cvt_f16_f32_e32 v51, v66
	v_add_u32_e32 v52, 1, v0
	v_mov_b32_e32 v53, v1
	v_lshlrev_b64 v[52:53], 1, v[52:53]
	s_waitcnt lgkmcnt(0)
	v_mov_b32_e32 v66, s25
	v_add_co_u32_e64 v52, s[16:17], s24, v52
	v_addc_co_u32_e64 v53, s[16:17], v66, v53, s[16:17]
	global_store_short v[52:53], v51, off
	s_or_b64 exec, exec, s[34:35]
	s_and_saveexec_b64 s[34:35], s[6:7]
	s_cbranch_execz .LBB15_51
.LBB15_77:                              ;   in Loop: Header=BB15_16 Depth=1
	v_cvt_f16_f32_e32 v51, v65
	v_add_u32_e32 v52, 2, v0
	v_mov_b32_e32 v53, v1
	v_lshlrev_b64 v[52:53], 1, v[52:53]
	s_waitcnt lgkmcnt(0)
	v_mov_b32_e32 v65, s25
	v_add_co_u32_e64 v52, s[16:17], s24, v52
	v_addc_co_u32_e64 v53, s[16:17], v65, v53, s[16:17]
	global_store_short v[52:53], v51, off
	s_or_b64 exec, exec, s[34:35]
	s_and_saveexec_b64 s[34:35], s[8:9]
	s_cbranch_execz .LBB15_52
.LBB15_78:                              ;   in Loop: Header=BB15_16 Depth=1
	v_cvt_f16_f32_e32 v51, v64
	v_add_u32_e32 v52, 3, v0
	v_mov_b32_e32 v53, v1
	v_lshlrev_b64 v[52:53], 1, v[52:53]
	s_waitcnt lgkmcnt(0)
	v_mov_b32_e32 v64, s25
	v_add_co_u32_e64 v52, s[16:17], s24, v52
	v_addc_co_u32_e64 v53, s[16:17], v64, v53, s[16:17]
	global_store_short v[52:53], v51, off
	s_or_b64 exec, exec, s[34:35]
	s_and_saveexec_b64 s[34:35], s[10:11]
	s_cbranch_execz .LBB15_53
.LBB15_79:                              ;   in Loop: Header=BB15_16 Depth=1
	v_cvt_f16_f32_e32 v51, v63
	v_add_u32_e32 v52, 4, v0
	v_mov_b32_e32 v53, v1
	v_lshlrev_b64 v[52:53], 1, v[52:53]
	s_waitcnt lgkmcnt(0)
	v_mov_b32_e32 v63, s25
	v_add_co_u32_e64 v52, s[16:17], s24, v52
	v_addc_co_u32_e64 v53, s[16:17], v63, v53, s[16:17]
	global_store_short v[52:53], v51, off
	s_or_b64 exec, exec, s[34:35]
	s_and_saveexec_b64 s[34:35], s[12:13]
	s_cbranch_execz .LBB15_54
.LBB15_80:                              ;   in Loop: Header=BB15_16 Depth=1
	v_cvt_f16_f32_e32 v51, v62
	v_add_u32_e32 v52, 5, v0
	v_mov_b32_e32 v53, v1
	v_lshlrev_b64 v[52:53], 1, v[52:53]
	s_waitcnt lgkmcnt(0)
	v_mov_b32_e32 v62, s25
	v_add_co_u32_e64 v52, s[16:17], s24, v52
	v_addc_co_u32_e64 v53, s[16:17], v62, v53, s[16:17]
	global_store_short v[52:53], v51, off
	s_or_b64 exec, exec, s[34:35]
	s_and_saveexec_b64 s[34:35], s[14:15]
	s_cbranch_execz .LBB15_55
.LBB15_81:                              ;   in Loop: Header=BB15_16 Depth=1
	v_cvt_f16_f32_e32 v51, v61
	v_add_u32_e32 v52, 6, v0
	v_mov_b32_e32 v53, v1
	v_lshlrev_b64 v[52:53], 1, v[52:53]
	s_waitcnt lgkmcnt(0)
	v_mov_b32_e32 v61, s25
	v_add_co_u32_e64 v52, s[16:17], s24, v52
	v_addc_co_u32_e64 v53, s[16:17], v61, v53, s[16:17]
	global_store_short v[52:53], v51, off
	s_or_b64 exec, exec, s[34:35]
	v_add_u32_e32 v0, s19, v0
	s_and_saveexec_b64 s[16:17], vcc
	s_cbranch_execz .LBB15_56
.LBB15_82:                              ;   in Loop: Header=BB15_16 Depth=1
	v_cvt_f16_f32_e32 v51, v60
	v_lshlrev_b64 v[52:53], 1, v[0:1]
	s_waitcnt lgkmcnt(0)
	v_mov_b32_e32 v60, s25
	v_add_co_u32_e32 v52, vcc, s24, v52
	v_addc_co_u32_e32 v53, vcc, v60, v53, vcc
	global_store_short v[52:53], v51, off
	s_or_b64 exec, exec, s[16:17]
	s_and_saveexec_b64 s[16:17], s[4:5]
	s_cbranch_execz .LBB15_57
.LBB15_83:                              ;   in Loop: Header=BB15_16 Depth=1
	v_cvt_f16_f32_e32 v51, v59
	v_add_u32_e32 v52, 1, v0
	v_mov_b32_e32 v53, v1
	v_lshlrev_b64 v[52:53], 1, v[52:53]
	s_waitcnt lgkmcnt(0)
	v_mov_b32_e32 v59, s25
	v_add_co_u32_e32 v52, vcc, s24, v52
	v_addc_co_u32_e32 v53, vcc, v59, v53, vcc
	global_store_short v[52:53], v51, off
	s_or_b64 exec, exec, s[16:17]
	s_and_saveexec_b64 s[4:5], s[6:7]
	s_cbranch_execz .LBB15_58
.LBB15_84:                              ;   in Loop: Header=BB15_16 Depth=1
	v_cvt_f16_f32_e32 v51, v58
	v_add_u32_e32 v52, 2, v0
	v_mov_b32_e32 v53, v1
	v_lshlrev_b64 v[52:53], 1, v[52:53]
	s_waitcnt lgkmcnt(0)
	v_mov_b32_e32 v58, s25
	v_add_co_u32_e32 v52, vcc, s24, v52
	v_addc_co_u32_e32 v53, vcc, v58, v53, vcc
	global_store_short v[52:53], v51, off
	s_or_b64 exec, exec, s[4:5]
	s_and_saveexec_b64 s[4:5], s[8:9]
	s_cbranch_execz .LBB15_59
.LBB15_85:                              ;   in Loop: Header=BB15_16 Depth=1
	v_cvt_f16_f32_e32 v51, v57
	v_add_u32_e32 v52, 3, v0
	v_mov_b32_e32 v53, v1
	v_lshlrev_b64 v[52:53], 1, v[52:53]
	s_waitcnt lgkmcnt(0)
	v_mov_b32_e32 v57, s25
	v_add_co_u32_e32 v52, vcc, s24, v52
	v_addc_co_u32_e32 v53, vcc, v57, v53, vcc
	global_store_short v[52:53], v51, off
	s_or_b64 exec, exec, s[4:5]
	s_and_saveexec_b64 s[4:5], s[10:11]
	s_cbranch_execz .LBB15_60
.LBB15_86:                              ;   in Loop: Header=BB15_16 Depth=1
	v_cvt_f16_f32_e32 v51, v56
	v_add_u32_e32 v52, 4, v0
	v_mov_b32_e32 v53, v1
	v_lshlrev_b64 v[52:53], 1, v[52:53]
	s_waitcnt lgkmcnt(0)
	v_mov_b32_e32 v56, s25
	v_add_co_u32_e32 v52, vcc, s24, v52
	v_addc_co_u32_e32 v53, vcc, v56, v53, vcc
	global_store_short v[52:53], v51, off
	s_or_b64 exec, exec, s[4:5]
	s_and_saveexec_b64 s[4:5], s[12:13]
	s_cbranch_execz .LBB15_61
.LBB15_87:                              ;   in Loop: Header=BB15_16 Depth=1
	v_cvt_f16_f32_e32 v51, v55
	v_add_u32_e32 v52, 5, v0
	v_mov_b32_e32 v53, v1
	v_lshlrev_b64 v[52:53], 1, v[52:53]
	s_waitcnt lgkmcnt(0)
	v_mov_b32_e32 v55, s25
	v_add_co_u32_e32 v52, vcc, s24, v52
	v_addc_co_u32_e32 v53, vcc, v55, v53, vcc
	global_store_short v[52:53], v51, off
	s_or_b64 exec, exec, s[4:5]
	s_and_b64 exec, exec, s[14:15]
	s_cbranch_execnz .LBB15_62
	s_branch .LBB15_63
.LBB15_88:
	s_endpgm
	.section	.rodata,"a",@progbits
	.p2align	6, 0x0
	.amdhsa_kernel _Z12wvSplitK_hf_I6__halfLi64ELi7ELi16ELi8ELi1ELi3EEviiPKT_S3_PS1_ii
		.amdhsa_group_segment_fixed_size 65536
		.amdhsa_private_segment_fixed_size 0
		.amdhsa_kernarg_size 40
		.amdhsa_user_sgpr_count 6
		.amdhsa_user_sgpr_private_segment_buffer 1
		.amdhsa_user_sgpr_dispatch_ptr 0
		.amdhsa_user_sgpr_queue_ptr 0
		.amdhsa_user_sgpr_kernarg_segment_ptr 1
		.amdhsa_user_sgpr_dispatch_id 0
		.amdhsa_user_sgpr_flat_scratch_init 0
		.amdhsa_user_sgpr_kernarg_preload_length 0
		.amdhsa_user_sgpr_kernarg_preload_offset 0
		.amdhsa_user_sgpr_private_segment_size 0
		.amdhsa_uses_dynamic_stack 0
		.amdhsa_system_sgpr_private_segment_wavefront_offset 0
		.amdhsa_system_sgpr_workgroup_id_x 1
		.amdhsa_system_sgpr_workgroup_id_y 0
		.amdhsa_system_sgpr_workgroup_id_z 0
		.amdhsa_system_sgpr_workgroup_info 0
		.amdhsa_system_vgpr_workitem_id 1
		.amdhsa_next_free_vgpr 75
		.amdhsa_next_free_sgpr 38
		.amdhsa_accum_offset 76
		.amdhsa_reserve_vcc 1
		.amdhsa_reserve_flat_scratch 0
		.amdhsa_float_round_mode_32 0
		.amdhsa_float_round_mode_16_64 0
		.amdhsa_float_denorm_mode_32 3
		.amdhsa_float_denorm_mode_16_64 3
		.amdhsa_dx10_clamp 1
		.amdhsa_ieee_mode 1
		.amdhsa_fp16_overflow 0
		.amdhsa_tg_split 0
		.amdhsa_exception_fp_ieee_invalid_op 0
		.amdhsa_exception_fp_denorm_src 0
		.amdhsa_exception_fp_ieee_div_zero 0
		.amdhsa_exception_fp_ieee_overflow 0
		.amdhsa_exception_fp_ieee_underflow 0
		.amdhsa_exception_fp_ieee_inexact 0
		.amdhsa_exception_int_div_zero 0
	.end_amdhsa_kernel
	.section	.text._Z12wvSplitK_hf_I6__halfLi64ELi7ELi16ELi8ELi1ELi3EEviiPKT_S3_PS1_ii,"axG",@progbits,_Z12wvSplitK_hf_I6__halfLi64ELi7ELi16ELi8ELi1ELi3EEviiPKT_S3_PS1_ii,comdat
.Lfunc_end15:
	.size	_Z12wvSplitK_hf_I6__halfLi64ELi7ELi16ELi8ELi1ELi3EEviiPKT_S3_PS1_ii, .Lfunc_end15-_Z12wvSplitK_hf_I6__halfLi64ELi7ELi16ELi8ELi1ELi3EEviiPKT_S3_PS1_ii
                                        ; -- End function
	.section	.AMDGPU.csdata,"",@progbits
; Kernel info:
; codeLenInByte = 5972
; NumSgprs: 42
; NumVgprs: 75
; NumAgprs: 0
; TotalNumVgprs: 75
; ScratchSize: 0
; MemoryBound: 1
; FloatMode: 240
; IeeeMode: 1
; LDSByteSize: 65536 bytes/workgroup (compile time only)
; SGPRBlocks: 5
; VGPRBlocks: 9
; NumSGPRsForWavesPerEU: 42
; NumVGPRsForWavesPerEU: 75
; AccumOffset: 76
; Occupancy: 4
; WaveLimiterHint : 0
; COMPUTE_PGM_RSRC2:SCRATCH_EN: 0
; COMPUTE_PGM_RSRC2:USER_SGPR: 6
; COMPUTE_PGM_RSRC2:TRAP_HANDLER: 0
; COMPUTE_PGM_RSRC2:TGID_X_EN: 1
; COMPUTE_PGM_RSRC2:TGID_Y_EN: 0
; COMPUTE_PGM_RSRC2:TGID_Z_EN: 0
; COMPUTE_PGM_RSRC2:TIDIG_COMP_CNT: 1
; COMPUTE_PGM_RSRC3_GFX90A:ACCUM_OFFSET: 18
; COMPUTE_PGM_RSRC3_GFX90A:TG_SPLIT: 0
	.section	.text._Z16wvSplitK_hf_big_I6__halfLi64ELi7ELi16ELi8ELi1ELi3EEviiPKT_S3_PS1_ii,"axG",@progbits,_Z16wvSplitK_hf_big_I6__halfLi64ELi7ELi16ELi8ELi1ELi3EEviiPKT_S3_PS1_ii,comdat
	.protected	_Z16wvSplitK_hf_big_I6__halfLi64ELi7ELi16ELi8ELi1ELi3EEviiPKT_S3_PS1_ii ; -- Begin function _Z16wvSplitK_hf_big_I6__halfLi64ELi7ELi16ELi8ELi1ELi3EEviiPKT_S3_PS1_ii
	.globl	_Z16wvSplitK_hf_big_I6__halfLi64ELi7ELi16ELi8ELi1ELi3EEviiPKT_S3_PS1_ii
	.p2align	8
	.type	_Z16wvSplitK_hf_big_I6__halfLi64ELi7ELi16ELi8ELi1ELi3EEviiPKT_S3_PS1_ii,@function
_Z16wvSplitK_hf_big_I6__halfLi64ELi7ELi16ELi8ELi1ELi3EEviiPKT_S3_PS1_ii: ; @_Z16wvSplitK_hf_big_I6__halfLi64ELi7ELi16ELi8ELi1ELi3EEviiPKT_S3_PS1_ii
; %bb.0:
	s_load_dwordx2 s[2:3], s[4:5], 0x20
	v_bfe_u32 v1, v0, 10, 10
	s_waitcnt lgkmcnt(0)
	v_cmp_gt_u32_e32 vcc, s2, v1
	s_and_saveexec_b64 s[0:1], vcc
	s_cbranch_execz .LBB16_78
; %bb.1:
	s_load_dwordx2 s[24:25], s[4:5], 0x0
	s_mul_i32 s6, s6, s2
	v_add_u32_e32 v2, s6, v1
	v_mul_lo_u32 v50, v2, 7
	v_add_u32_e32 v2, 7, v50
	s_mov_b32 s8, 1
	s_waitcnt lgkmcnt(0)
	v_cmp_gt_u32_e32 vcc, s25, v50
	v_cmp_le_u32_e64 s[0:1], s25, v2
	s_mov_b32 s9, s8
	s_mov_b32 s10, s8
	;; [unrolled: 1-line block ×6, first 2 shown]
	v_mov_b32_e32 v2, s8
	s_and_b64 s[6:7], vcc, s[0:1]
	v_mov_b32_e32 v3, s9
	v_mov_b32_e32 v4, s10
	;; [unrolled: 1-line block ×6, first 2 shown]
	s_and_saveexec_b64 s[0:1], s[6:7]
	s_cbranch_execz .LBB16_7
; %bb.2:
	s_add_i32 s15, s25, -7
	v_mov_b32_e32 v2, s8
	v_cmp_ne_u32_e32 vcc, s15, v50
	v_mov_b32_e32 v3, s9
	v_mov_b32_e32 v4, s10
	;; [unrolled: 1-line block ×6, first 2 shown]
	s_and_saveexec_b64 s[6:7], vcc
	s_cbranch_execz .LBB16_6
; %bb.3:
	v_subrev_u32_e32 v2, s15, v50
	v_cmp_lt_u32_e32 vcc, 1, v2
	v_cndmask_b32_e32 v10, 1, v2, vcc
	s_mov_b64 s[16:17], 0
	s_mov_b64 s[18:19], 0
	s_mov_b32 s9, s8
	s_mov_b32 s10, s8
	;; [unrolled: 1-line block ×6, first 2 shown]
.LBB16_4:                               ; =>This Inner Loop Header: Depth=1
	s_cmp_lg_u32 s18, 6
	s_cselect_b32 s14, s14, 0
	s_cmp_lg_u32 s18, 5
	s_cselect_b32 s13, s13, 0
	;; [unrolled: 2-line block ×7, first 2 shown]
	s_add_u32 s18, s18, 1
	s_addc_u32 s19, s19, 0
	v_cmp_eq_u32_e32 vcc, s18, v10
	v_mov_b32_e32 v2, s8
	s_or_b64 s[16:17], vcc, s[16:17]
	v_mov_b32_e32 v3, s9
	v_mov_b32_e32 v4, s10
	;; [unrolled: 1-line block ×6, first 2 shown]
	s_andn2_b64 exec, exec, s[16:17]
	s_cbranch_execnz .LBB16_4
; %bb.5:
	s_or_b64 exec, exec, s[16:17]
	v_mov_b32_e32 v50, s15
.LBB16_6:
	s_or_b64 exec, exec, s[6:7]
.LBB16_7:
	s_or_b64 exec, exec, s[0:1]
	s_mul_i32 s42, s2, 7
	s_abs_i32 s0, s42
	v_cvt_f32_u32_e32 v9, s0
	s_sub_i32 s7, 0, s0
	s_abs_i32 s6, s25
	s_ashr_i32 s1, s25, 31
	v_rcp_iflag_f32_e32 v9, v9
	v_mul_f32_e32 v9, 0x4f7ffffe, v9
	v_cvt_u32_f32_e32 v9, v9
	v_readfirstlane_b32 s8, v9
	s_mul_i32 s7, s7, s8
	s_mul_hi_u32 s7, s8, s7
	s_add_i32 s8, s8, s7
	s_mul_hi_u32 s7, s6, s8
	s_mul_i32 s7, s7, s0
	s_sub_i32 s6, s6, s7
	s_sub_i32 s7, s6, s0
	s_cmp_ge_u32 s6, s0
	s_cselect_b32 s6, s7, s6
	s_sub_i32 s7, s6, s0
	s_cmp_ge_u32 s6, s0
	s_cselect_b32 s0, s7, s6
	s_xor_b32 s0, s0, s1
	s_sub_i32 s0, s0, s1
	s_add_i32 s1, s42, s25
	s_sub_i32 s1, s1, s0
	s_cmp_eq_u32 s0, 0
	s_cselect_b32 s33, s25, s1
	v_cmp_gt_u32_e32 vcc, s33, v50
	s_and_b64 exec, exec, vcc
	s_cbranch_execz .LBB16_78
; %bb.8:
	s_load_dwordx4 s[20:23], s[4:5], 0x8
	s_load_dwordx2 s[26:27], s[4:5], 0x18
	s_mov_b32 s0, 0
	v_cvt_f64_i32_e32 v[10:11], s24
	s_mov_b32 s1, 0x40c50000
	s_cmp_lg_u32 s24, 0
	v_min_f64 v[10:11], v[10:11], s[0:1]
	v_and_b32_e32 v0, 0x3ff, v0
	s_cselect_b64 s[4:5], -1, 0
	s_ashr_i32 s7, s24, 31
	s_mov_b32 s6, s24
	v_cvt_u32_f64_e32 v10, v[10:11]
	v_lshlrev_b32_e32 v9, 3, v0
	s_lshl_b32 s41, s2, 9
	v_cmp_eq_u32_e64 s[0:1], 63, v0
	s_add_i32 s43, s25, -7
	s_lshl_b64 s[28:29], s[6:7], 1
	v_lshlrev_b32_e32 v0, 4, v0
	s_waitcnt lgkmcnt(0)
	s_add_u32 s44, s26, 2
	v_lshl_add_u32 v53, v1, 10, v0
	v_cndmask_b32_e64 v0, 0, 1, s[4:5]
	v_cmp_ne_u32_e32 vcc, 0, v10
	v_readfirstlane_b32 s40, v10
	s_mul_i32 s42, s42, s3
	s_addc_u32 s45, s27, 0
	s_lshl_b32 s46, s2, 10
	v_lshl_add_u32 v55, v1, 9, v9
	v_cmp_ne_u32_e64 s[2:3], 1, v0
	v_cndmask_b32_e64 v0, 0, 1, vcc
	v_lshlrev_b32_e32 v52, 2, v10
	v_lshlrev_b32_e32 v54, 1, v10
	v_lshl_add_u32 v56, s24, 1, v55
	v_add_u32_e32 v57, s24, v55
	s_mov_b64 s[30:31], 0
	v_cmp_ne_u32_e64 s[4:5], 1, v0
	v_mov_b32_e32 v1, 0
	s_lshl_b32 s47, s40, 1
	s_branch .LBB16_12
.LBB16_9:                               ;   in Loop: Header=BB16_12 Depth=1
	s_or_b64 exec, exec, s[10:11]
	v_mov_b32_e32 v50, s43
.LBB16_10:                              ;   in Loop: Header=BB16_12 Depth=1
	s_or_b64 exec, exec, s[8:9]
.LBB16_11:                              ;   in Loop: Header=BB16_12 Depth=1
	s_or_b64 exec, exec, s[34:35]
	v_cmp_le_u32_e32 vcc, s33, v50
	s_or_b64 s[30:31], vcc, s[30:31]
	s_andn2_b64 exec, exec, s[30:31]
	s_cbranch_execz .LBB16_78
.LBB16_12:                              ; =>This Loop Header: Depth=1
                                        ;     Child Loop BB16_16 Depth 2
                                        ;       Child Loop BB16_21 Depth 3
                                        ;     Child Loop BB16_56 Depth 2
	s_mov_b32 s14, 0
	s_and_b64 vcc, exec, s[2:3]
	v_mov_b32_e32 v58, v1
	v_mov_b32_e32 v59, v1
	;; [unrolled: 1-line block ×21, first 2 shown]
	s_cbranch_vccnz .LBB16_27
; %bb.13:                               ;   in Loop: Header=BB16_12 Depth=1
	v_cmp_gt_u32_e64 s[6:7], s25, v50
	v_mul_lo_u32 v78, v50, s24
	v_mov_b32_e32 v77, 0
	v_mov_b32_e32 v51, 0
	;; [unrolled: 1-line block ×21, first 2 shown]
	s_mov_b32 s15, 0
	s_branch .LBB16_16
.LBB16_14:                              ;   in Loop: Header=BB16_16 Depth=2
	s_or_b64 exec, exec, s[10:11]
.LBB16_15:                              ;   in Loop: Header=BB16_16 Depth=2
	s_or_b64 exec, exec, s[8:9]
	s_addk_i32 s15, 0x200
	s_cmp_ge_u32 s15, s24
	s_cbranch_scc1 .LBB16_27
.LBB16_16:                              ;   Parent Loop BB16_12 Depth=1
                                        ; =>  This Loop Header: Depth=2
                                        ;       Child Loop BB16_21 Depth 3
	s_cmp_eq_u32 s15, 0
	s_cselect_b64 s[8:9], -1, 0
	s_add_i32 s10, s14, s40
	s_cmp_eq_u32 s15, s10
	s_cselect_b64 s[12:13], -1, 0
	s_or_b64 s[12:13], s[8:9], s[12:13]
	s_andn2_b64 vcc, exec, s[12:13]
	s_cbranch_vccz .LBB16_18
; %bb.17:                               ;   in Loop: Header=BB16_16 Depth=2
	s_and_saveexec_b64 s[8:9], s[6:7]
	s_cbranch_execz .LBB16_15
	s_branch .LBB16_25
.LBB16_18:                              ;   in Loop: Header=BB16_16 Depth=2
	s_and_b64 s[8:9], s[8:9], exec
	s_cselect_b32 s14, s14, s10
	s_and_b64 vcc, exec, s[4:5]
	s_barrier
	s_cbranch_vccnz .LBB16_24
; %bb.19:                               ;   in Loop: Header=BB16_16 Depth=2
	v_add_u32_e32 v10, s14, v56
	v_add_u32_e32 v11, s14, v57
	;; [unrolled: 1-line block ×3, first 2 shown]
	s_mov_b32 s16, 0
	s_mov_b64 s[10:11], 0
	v_mov_b32_e32 v13, v53
                                        ; implicit-def: $sgpr12_sgpr13
	s_branch .LBB16_21
.LBB16_20:                              ;   in Loop: Header=BB16_21 Depth=3
	s_or_b64 exec, exec, s[8:9]
	s_and_b64 s[8:9], exec, s[12:13]
	s_or_b64 s[10:11], s[8:9], s[10:11]
	s_andn2_b64 exec, exec, s[10:11]
	s_cbranch_execz .LBB16_23
.LBB16_21:                              ;   Parent Loop BB16_12 Depth=1
                                        ;     Parent Loop BB16_16 Depth=2
                                        ; =>    This Inner Loop Header: Depth=3
	v_add_u32_e32 v14, s16, v55
	v_add_u32_e32 v0, s16, v12
	v_cmp_gt_u32_e32 vcc, s24, v0
	v_cmp_gt_u32_e64 s[8:9], s40, v14
	s_and_b64 s[18:19], vcc, s[8:9]
	s_or_b64 s[12:13], s[12:13], exec
	s_and_saveexec_b64 s[8:9], s[18:19]
	s_cbranch_execz .LBB16_20
; %bb.22:                               ;   in Loop: Header=BB16_21 Depth=3
	v_lshlrev_b64 v[14:15], 1, v[0:1]
	v_mov_b32_e32 v26, s23
	v_add_co_u32_e32 v22, vcc, s22, v14
	v_add_u32_e32 v0, s16, v11
	v_addc_co_u32_e32 v23, vcc, v26, v15, vcc
	v_lshlrev_b64 v[14:15], 1, v[0:1]
	v_add_co_u32_e32 v24, vcc, s22, v14
	v_add_u32_e32 v0, s16, v10
	v_addc_co_u32_e32 v25, vcc, v26, v15, vcc
	global_load_dwordx4 v[14:17], v[22:23], off
	global_load_dwordx4 v[18:21], v[24:25], off
	v_lshlrev_b64 v[22:23], 1, v[0:1]
	v_add_co_u32_e32 v22, vcc, s22, v22
	v_addc_co_u32_e32 v23, vcc, v26, v23, vcc
	global_load_dwordx4 v[22:25], v[22:23], off
	s_add_i32 s16, s16, s41
	s_cmp_ge_u32 s16, s40
	s_cselect_b64 s[18:19], -1, 0
	s_andn2_b64 s[12:13], s[12:13], exec
	s_and_b64 s[18:19], s[18:19], exec
	v_add_u32_e32 v0, v13, v54
	v_add_u32_e32 v26, v13, v52
	s_or_b64 s[12:13], s[12:13], s[18:19]
	s_waitcnt vmcnt(2)
	ds_write_b128 v13, v[14:17]
	v_add_u32_e32 v13, s46, v13
	s_waitcnt vmcnt(1)
	ds_write2_b64 v0, v[18:19], v[20:21] offset1:1
	s_waitcnt vmcnt(0)
	ds_write2_b32 v26, v22, v23 offset1:1
	ds_write2_b32 v26, v24, v25 offset0:2 offset1:3
	s_branch .LBB16_20
.LBB16_23:                              ;   in Loop: Header=BB16_16 Depth=2
	s_or_b64 exec, exec, s[10:11]
.LBB16_24:                              ;   in Loop: Header=BB16_16 Depth=2
	s_waitcnt lgkmcnt(0)
	s_barrier
	s_and_saveexec_b64 s[8:9], s[6:7]
	s_cbranch_execz .LBB16_15
.LBB16_25:                              ;   in Loop: Header=BB16_16 Depth=2
	v_add_u32_e32 v22, s15, v9
	v_cmp_gt_u32_e32 vcc, s24, v22
	s_and_saveexec_b64 s[10:11], vcc
	s_cbranch_execz .LBB16_14
; %bb.26:                               ;   in Loop: Header=BB16_16 Depth=2
	v_add_u32_e32 v0, v22, v78
	v_lshlrev_b64 v[10:11], 1, v[0:1]
	v_mov_b32_e32 v0, s21
	v_add_co_u32_e32 v10, vcc, s20, v10
	v_addc_co_u32_e32 v11, vcc, v0, v11, vcc
	global_load_dwordx4 v[38:41], v[10:11], off glc slc
	v_mov_b32_e32 v0, s29
	v_add_co_u32_e32 v10, vcc, s28, v10
	v_addc_co_u32_e32 v11, vcc, v11, v0, vcc
	global_load_dwordx4 v[34:37], v[10:11], off glc slc
	v_add_co_u32_e32 v10, vcc, s28, v10
	v_addc_co_u32_e32 v11, vcc, v11, v0, vcc
	global_load_dwordx4 v[30:33], v[10:11], off glc slc
	;; [unrolled: 3-line block ×5, first 2 shown]
	v_add_co_u32_e32 v10, vcc, s28, v10
	v_addc_co_u32_e32 v11, vcc, v11, v0, vcc
	v_subrev_u32_e32 v0, s14, v22
	v_lshlrev_b32_e32 v0, 1, v0
	global_load_dwordx4 v[10:13], v[10:11], off glc slc
	v_add_u32_e32 v22, s47, v0
	ds_read_b128 v[46:49], v0
	ds_read_b128 v[42:45], v22
	v_add_u32_e32 v0, s47, v22
	ds_read_b128 v[22:25], v0
	s_waitcnt vmcnt(6) lgkmcnt(2)
	;;#ASMSTART
	v_dot2c_f32_f16 v51, v46, v38
	;;#ASMEND
	s_waitcnt lgkmcnt(1)
	;;#ASMSTART
	v_dot2c_f32_f16 v71, v42, v38
	;;#ASMEND
	s_waitcnt vmcnt(5)
	;;#ASMSTART
	v_dot2c_f32_f16 v77, v46, v34
	;;#ASMEND
	;;#ASMSTART
	v_dot2c_f32_f16 v70, v42, v34
	;;#ASMEND
	s_waitcnt vmcnt(4)
	;;#ASMSTART
	v_dot2c_f32_f16 v76, v46, v30
	;;#ASMEND
	;; [unrolled: 7-line block ×5, first 2 shown]
	s_waitcnt vmcnt(0)
	;;#ASMSTART
	v_dot2c_f32_f16 v72, v46, v10
	;;#ASMEND
	;;#ASMSTART
	v_dot2c_f32_f16 v66, v42, v14
	;;#ASMEND
	;; [unrolled: 3-line block ×3, first 2 shown]
	s_waitcnt lgkmcnt(0)
	;;#ASMSTART
	v_dot2c_f32_f16 v64, v22, v38
	;;#ASMEND
	;;#ASMSTART
	v_dot2c_f32_f16 v63, v22, v34
	;;#ASMEND
	;; [unrolled: 3-line block ×70, first 2 shown]
	s_branch .LBB16_14
.LBB16_27:                              ;   in Loop: Header=BB16_12 Depth=1
	v_cmp_le_u32_e32 vcc, s25, v50
	s_and_saveexec_b64 s[6:7], vcc
	s_xor_b64 s[6:7], exec, s[6:7]
; %bb.28:                               ;   in Loop: Header=BB16_12 Depth=1
	v_add_u32_e32 v50, s42, v50
                                        ; implicit-def: $vgpr58
                                        ; implicit-def: $vgpr59
                                        ; implicit-def: $vgpr60
                                        ; implicit-def: $vgpr61
                                        ; implicit-def: $vgpr62
                                        ; implicit-def: $vgpr63
                                        ; implicit-def: $vgpr64
                                        ; implicit-def: $vgpr65
                                        ; implicit-def: $vgpr66
                                        ; implicit-def: $vgpr67
                                        ; implicit-def: $vgpr68
                                        ; implicit-def: $vgpr69
                                        ; implicit-def: $vgpr70
                                        ; implicit-def: $vgpr71
                                        ; implicit-def: $vgpr72
                                        ; implicit-def: $vgpr73
                                        ; implicit-def: $vgpr74
                                        ; implicit-def: $vgpr75
                                        ; implicit-def: $vgpr76
                                        ; implicit-def: $vgpr51
                                        ; implicit-def: $vgpr77
; %bb.29:                               ;   in Loop: Header=BB16_12 Depth=1
	s_andn2_saveexec_b64 s[34:35], s[6:7]
	s_cbranch_execz .LBB16_11
; %bb.30:                               ;   in Loop: Header=BB16_12 Depth=1
	;;#ASMSTART
	s_nop 0
	v_add_f32 v51, v51, v51 row_shr:8 bound_ctrl:0 
	;;#ASMEND
	;;#ASMSTART
	s_nop 0
	v_add_f32 v77, v77, v77 row_shr:8 bound_ctrl:0 
	;;#ASMEND
	;; [unrolled: 4-line block ×63, first 2 shown]
	;;#ASMSTART
	s_nop 0
	v_add_f32 v51, v51, v51 wave_shr:1 bound_ctrl:0
	;;#ASMEND
	;;#ASMSTART
	s_nop 0
	v_add_f32 v77, v77, v77 wave_shr:1 bound_ctrl:0
	;;#ASMEND
	;; [unrolled: 4-line block ×21, first 2 shown]
	;;#ASMSTART
	s_nop 0
	v_add_f32 v51, v51, v51 row_bcast:15 bound_ctrl:0
	;;#ASMEND
	;;#ASMSTART
	s_nop 0
	v_add_f32 v77, v77, v77 row_bcast:15 bound_ctrl:0
	;;#ASMEND
	;; [unrolled: 4-line block ×42, first 2 shown]
	s_and_saveexec_b64 s[36:37], s[0:1]
	s_cbranch_execz .LBB16_53
; %bb.31:                               ;   in Loop: Header=BB16_12 Depth=1
	v_cmp_ne_u32_e32 vcc, 0, v2
	s_and_saveexec_b64 s[8:9], vcc
	s_cbranch_execnz .LBB16_58
; %bb.32:                               ;   in Loop: Header=BB16_12 Depth=1
	s_or_b64 exec, exec, s[8:9]
	v_cmp_ne_u32_e64 s[6:7], 0, v3
	s_and_saveexec_b64 s[10:11], s[6:7]
	s_cbranch_execnz .LBB16_59
.LBB16_33:                              ;   in Loop: Header=BB16_12 Depth=1
	s_or_b64 exec, exec, s[10:11]
	v_cmp_ne_u32_e64 s[8:9], 0, v4
	s_and_saveexec_b64 s[12:13], s[8:9]
	s_cbranch_execnz .LBB16_60
.LBB16_34:                              ;   in Loop: Header=BB16_12 Depth=1
	s_or_b64 exec, exec, s[12:13]
	v_cmp_ne_u32_e64 s[10:11], 0, v5
	s_and_saveexec_b64 s[14:15], s[10:11]
	s_cbranch_execnz .LBB16_61
.LBB16_35:                              ;   in Loop: Header=BB16_12 Depth=1
	s_or_b64 exec, exec, s[14:15]
	v_cmp_ne_u32_e64 s[12:13], 0, v6
	s_and_saveexec_b64 s[16:17], s[12:13]
	s_cbranch_execnz .LBB16_62
.LBB16_36:                              ;   in Loop: Header=BB16_12 Depth=1
	s_or_b64 exec, exec, s[16:17]
	v_cmp_ne_u32_e64 s[14:15], 0, v7
	s_and_saveexec_b64 s[18:19], s[14:15]
	s_cbranch_execnz .LBB16_63
.LBB16_37:                              ;   in Loop: Header=BB16_12 Depth=1
	s_or_b64 exec, exec, s[18:19]
	v_cmp_ne_u32_e64 s[16:17], 0, v8
	s_and_saveexec_b64 s[38:39], s[16:17]
	s_cbranch_execnz .LBB16_64
.LBB16_38:                              ;   in Loop: Header=BB16_12 Depth=1
	s_or_b64 exec, exec, s[38:39]
	v_add_u32_e32 v0, s25, v50
	s_and_saveexec_b64 s[38:39], vcc
	s_cbranch_execnz .LBB16_65
.LBB16_39:                              ;   in Loop: Header=BB16_12 Depth=1
	s_or_b64 exec, exec, s[38:39]
	s_and_saveexec_b64 s[38:39], s[6:7]
	s_cbranch_execnz .LBB16_66
.LBB16_40:                              ;   in Loop: Header=BB16_12 Depth=1
	s_or_b64 exec, exec, s[38:39]
	s_and_saveexec_b64 s[38:39], s[8:9]
	s_cbranch_execnz .LBB16_67
.LBB16_41:                              ;   in Loop: Header=BB16_12 Depth=1
	s_or_b64 exec, exec, s[38:39]
	s_and_saveexec_b64 s[38:39], s[10:11]
	s_cbranch_execnz .LBB16_68
.LBB16_42:                              ;   in Loop: Header=BB16_12 Depth=1
	s_or_b64 exec, exec, s[38:39]
	s_and_saveexec_b64 s[38:39], s[12:13]
	s_cbranch_execnz .LBB16_69
.LBB16_43:                              ;   in Loop: Header=BB16_12 Depth=1
	s_or_b64 exec, exec, s[38:39]
	s_and_saveexec_b64 s[38:39], s[14:15]
	s_cbranch_execnz .LBB16_70
.LBB16_44:                              ;   in Loop: Header=BB16_12 Depth=1
	s_or_b64 exec, exec, s[38:39]
	s_and_saveexec_b64 s[38:39], s[16:17]
	s_cbranch_execnz .LBB16_71
.LBB16_45:                              ;   in Loop: Header=BB16_12 Depth=1
	s_or_b64 exec, exec, s[38:39]
	v_add_u32_e32 v0, s25, v0
	s_and_saveexec_b64 s[18:19], vcc
	s_cbranch_execnz .LBB16_72
.LBB16_46:                              ;   in Loop: Header=BB16_12 Depth=1
	s_or_b64 exec, exec, s[18:19]
	s_and_saveexec_b64 s[18:19], s[6:7]
	s_cbranch_execnz .LBB16_73
.LBB16_47:                              ;   in Loop: Header=BB16_12 Depth=1
	s_or_b64 exec, exec, s[18:19]
	s_and_saveexec_b64 s[6:7], s[8:9]
	s_cbranch_execnz .LBB16_74
.LBB16_48:                              ;   in Loop: Header=BB16_12 Depth=1
	s_or_b64 exec, exec, s[6:7]
	s_and_saveexec_b64 s[6:7], s[10:11]
	s_cbranch_execnz .LBB16_75
.LBB16_49:                              ;   in Loop: Header=BB16_12 Depth=1
	s_or_b64 exec, exec, s[6:7]
	s_and_saveexec_b64 s[6:7], s[12:13]
	s_cbranch_execnz .LBB16_76
.LBB16_50:                              ;   in Loop: Header=BB16_12 Depth=1
	s_or_b64 exec, exec, s[6:7]
	s_and_saveexec_b64 s[6:7], s[14:15]
	s_cbranch_execnz .LBB16_77
.LBB16_51:                              ;   in Loop: Header=BB16_12 Depth=1
	s_or_b64 exec, exec, s[6:7]
	s_and_b64 exec, exec, s[16:17]
	s_cbranch_execz .LBB16_53
.LBB16_52:                              ;   in Loop: Header=BB16_12 Depth=1
	v_cvt_f16_f32_e32 v12, v58
	v_add_u32_e32 v0, 6, v0
	v_lshlrev_b64 v[10:11], 1, v[0:1]
	v_mov_b32_e32 v0, s27
	v_add_co_u32_e32 v10, vcc, s26, v10
	v_addc_co_u32_e32 v11, vcc, v0, v11, vcc
	global_store_short v[10:11], v12, off
.LBB16_53:                              ;   in Loop: Header=BB16_12 Depth=1
	s_or_b64 exec, exec, s[36:37]
	v_add_u32_e32 v50, s42, v50
	v_add_u32_e32 v0, 7, v50
	v_cmp_gt_u32_e32 vcc, s25, v50
	v_cmp_le_u32_e64 s[6:7], s25, v0
	s_and_b64 s[6:7], vcc, s[6:7]
	s_and_saveexec_b64 s[8:9], s[6:7]
	s_cbranch_execz .LBB16_10
; %bb.54:                               ;   in Loop: Header=BB16_12 Depth=1
	v_cmp_ne_u32_e32 vcc, s43, v50
	s_and_saveexec_b64 s[10:11], vcc
	s_cbranch_execz .LBB16_9
; %bb.55:                               ;   in Loop: Header=BB16_12 Depth=1
	v_subrev_u32_e32 v0, s43, v50
	v_cmp_lt_u32_e32 vcc, 1, v0
	v_cndmask_b32_e32 v0, 1, v0, vcc
	s_mov_b64 s[12:13], 0
	s_mov_b64 s[14:15], 0
.LBB16_56:                              ;   Parent Loop BB16_12 Depth=1
                                        ; =>  This Inner Loop Header: Depth=2
	s_cmp_lg_u32 s14, 6
	s_cselect_b64 vcc, -1, 0
	s_cmp_lg_u32 s14, 5
	v_cndmask_b32_e32 v8, 0, v8, vcc
	s_cselect_b64 vcc, -1, 0
	s_cmp_lg_u32 s14, 4
	v_cndmask_b32_e32 v7, 0, v7, vcc
	;; [unrolled: 3-line block ×6, first 2 shown]
	s_cselect_b64 vcc, -1, 0
	s_add_u32 s14, s14, 1
	s_addc_u32 s15, s15, 0
	v_cmp_eq_u32_e64 s[6:7], s14, v0
	s_or_b64 s[12:13], s[6:7], s[12:13]
	v_cndmask_b32_e32 v2, 0, v2, vcc
	s_andn2_b64 exec, exec, s[12:13]
	s_cbranch_execnz .LBB16_56
; %bb.57:                               ;   in Loop: Header=BB16_12 Depth=1
	s_or_b64 exec, exec, s[12:13]
	s_branch .LBB16_9
.LBB16_58:                              ;   in Loop: Header=BB16_12 Depth=1
	v_cvt_f16_f32_e32 v0, v51
	v_mov_b32_e32 v51, v1
	v_lshlrev_b64 v[10:11], 1, v[50:51]
	v_mov_b32_e32 v12, s27
	v_add_co_u32_e64 v10, s[6:7], s26, v10
	v_addc_co_u32_e64 v11, s[6:7], v12, v11, s[6:7]
	global_store_short v[10:11], v0, off
	s_or_b64 exec, exec, s[8:9]
	v_cmp_ne_u32_e64 s[6:7], 0, v3
	s_and_saveexec_b64 s[10:11], s[6:7]
	s_cbranch_execz .LBB16_33
.LBB16_59:                              ;   in Loop: Header=BB16_12 Depth=1
	v_cvt_f16_f32_e32 v0, v77
	v_mov_b32_e32 v51, v1
	v_lshlrev_b64 v[10:11], 1, v[50:51]
	v_mov_b32_e32 v12, s45
	v_add_co_u32_e64 v10, s[8:9], s44, v10
	v_addc_co_u32_e64 v11, s[8:9], v12, v11, s[8:9]
	global_store_short v[10:11], v0, off
	s_or_b64 exec, exec, s[10:11]
	v_cmp_ne_u32_e64 s[8:9], 0, v4
	s_and_saveexec_b64 s[12:13], s[8:9]
	s_cbranch_execz .LBB16_34
.LBB16_60:                              ;   in Loop: Header=BB16_12 Depth=1
	v_cvt_f16_f32_e32 v12, v76
	v_add_u32_e32 v0, 2, v50
	v_lshlrev_b64 v[10:11], 1, v[0:1]
	v_mov_b32_e32 v0, s27
	v_add_co_u32_e64 v10, s[10:11], s26, v10
	v_addc_co_u32_e64 v11, s[10:11], v0, v11, s[10:11]
	global_store_short v[10:11], v12, off
	s_or_b64 exec, exec, s[12:13]
	v_cmp_ne_u32_e64 s[10:11], 0, v5
	s_and_saveexec_b64 s[14:15], s[10:11]
	s_cbranch_execz .LBB16_35
.LBB16_61:                              ;   in Loop: Header=BB16_12 Depth=1
	v_cvt_f16_f32_e32 v12, v75
	v_add_u32_e32 v0, 3, v50
	v_lshlrev_b64 v[10:11], 1, v[0:1]
	v_mov_b32_e32 v0, s27
	v_add_co_u32_e64 v10, s[12:13], s26, v10
	v_addc_co_u32_e64 v11, s[12:13], v0, v11, s[12:13]
	global_store_short v[10:11], v12, off
	s_or_b64 exec, exec, s[14:15]
	v_cmp_ne_u32_e64 s[12:13], 0, v6
	s_and_saveexec_b64 s[16:17], s[12:13]
	s_cbranch_execz .LBB16_36
.LBB16_62:                              ;   in Loop: Header=BB16_12 Depth=1
	v_cvt_f16_f32_e32 v12, v74
	v_add_u32_e32 v0, 4, v50
	v_lshlrev_b64 v[10:11], 1, v[0:1]
	v_mov_b32_e32 v0, s27
	v_add_co_u32_e64 v10, s[14:15], s26, v10
	v_addc_co_u32_e64 v11, s[14:15], v0, v11, s[14:15]
	global_store_short v[10:11], v12, off
	s_or_b64 exec, exec, s[16:17]
	v_cmp_ne_u32_e64 s[14:15], 0, v7
	s_and_saveexec_b64 s[18:19], s[14:15]
	s_cbranch_execz .LBB16_37
.LBB16_63:                              ;   in Loop: Header=BB16_12 Depth=1
	v_cvt_f16_f32_e32 v12, v73
	v_add_u32_e32 v0, 5, v50
	v_lshlrev_b64 v[10:11], 1, v[0:1]
	v_mov_b32_e32 v0, s27
	v_add_co_u32_e64 v10, s[16:17], s26, v10
	v_addc_co_u32_e64 v11, s[16:17], v0, v11, s[16:17]
	global_store_short v[10:11], v12, off
	s_or_b64 exec, exec, s[18:19]
	v_cmp_ne_u32_e64 s[16:17], 0, v8
	s_and_saveexec_b64 s[38:39], s[16:17]
	s_cbranch_execz .LBB16_38
.LBB16_64:                              ;   in Loop: Header=BB16_12 Depth=1
	v_cvt_f16_f32_e32 v12, v72
	v_add_u32_e32 v0, 6, v50
	v_lshlrev_b64 v[10:11], 1, v[0:1]
	v_mov_b32_e32 v0, s27
	v_add_co_u32_e64 v10, s[18:19], s26, v10
	v_addc_co_u32_e64 v11, s[18:19], v0, v11, s[18:19]
	global_store_short v[10:11], v12, off
	s_or_b64 exec, exec, s[38:39]
	v_add_u32_e32 v0, s25, v50
	s_and_saveexec_b64 s[38:39], vcc
	s_cbranch_execz .LBB16_39
.LBB16_65:                              ;   in Loop: Header=BB16_12 Depth=1
	v_cvt_f16_f32_e32 v12, v71
	v_lshlrev_b64 v[10:11], 1, v[0:1]
	v_mov_b32_e32 v13, s27
	v_add_co_u32_e64 v10, s[18:19], s26, v10
	v_addc_co_u32_e64 v11, s[18:19], v13, v11, s[18:19]
	global_store_short v[10:11], v12, off
	s_or_b64 exec, exec, s[38:39]
	s_and_saveexec_b64 s[38:39], s[6:7]
	s_cbranch_execz .LBB16_40
.LBB16_66:                              ;   in Loop: Header=BB16_12 Depth=1
	v_cvt_f16_f32_e32 v12, v70
	v_add_u32_e32 v10, 1, v0
	v_mov_b32_e32 v11, v1
	v_lshlrev_b64 v[10:11], 1, v[10:11]
	v_mov_b32_e32 v13, s27
	v_add_co_u32_e64 v10, s[18:19], s26, v10
	v_addc_co_u32_e64 v11, s[18:19], v13, v11, s[18:19]
	global_store_short v[10:11], v12, off
	s_or_b64 exec, exec, s[38:39]
	s_and_saveexec_b64 s[38:39], s[8:9]
	s_cbranch_execz .LBB16_41
.LBB16_67:                              ;   in Loop: Header=BB16_12 Depth=1
	v_cvt_f16_f32_e32 v12, v69
	v_add_u32_e32 v10, 2, v0
	v_mov_b32_e32 v11, v1
	v_lshlrev_b64 v[10:11], 1, v[10:11]
	v_mov_b32_e32 v13, s27
	v_add_co_u32_e64 v10, s[18:19], s26, v10
	v_addc_co_u32_e64 v11, s[18:19], v13, v11, s[18:19]
	global_store_short v[10:11], v12, off
	s_or_b64 exec, exec, s[38:39]
	s_and_saveexec_b64 s[38:39], s[10:11]
	s_cbranch_execz .LBB16_42
.LBB16_68:                              ;   in Loop: Header=BB16_12 Depth=1
	v_cvt_f16_f32_e32 v12, v68
	v_add_u32_e32 v10, 3, v0
	v_mov_b32_e32 v11, v1
	v_lshlrev_b64 v[10:11], 1, v[10:11]
	v_mov_b32_e32 v13, s27
	v_add_co_u32_e64 v10, s[18:19], s26, v10
	v_addc_co_u32_e64 v11, s[18:19], v13, v11, s[18:19]
	global_store_short v[10:11], v12, off
	s_or_b64 exec, exec, s[38:39]
	s_and_saveexec_b64 s[38:39], s[12:13]
	s_cbranch_execz .LBB16_43
.LBB16_69:                              ;   in Loop: Header=BB16_12 Depth=1
	v_cvt_f16_f32_e32 v12, v67
	v_add_u32_e32 v10, 4, v0
	v_mov_b32_e32 v11, v1
	v_lshlrev_b64 v[10:11], 1, v[10:11]
	v_mov_b32_e32 v13, s27
	v_add_co_u32_e64 v10, s[18:19], s26, v10
	v_addc_co_u32_e64 v11, s[18:19], v13, v11, s[18:19]
	global_store_short v[10:11], v12, off
	s_or_b64 exec, exec, s[38:39]
	s_and_saveexec_b64 s[38:39], s[14:15]
	s_cbranch_execz .LBB16_44
.LBB16_70:                              ;   in Loop: Header=BB16_12 Depth=1
	v_cvt_f16_f32_e32 v12, v66
	v_add_u32_e32 v10, 5, v0
	v_mov_b32_e32 v11, v1
	v_lshlrev_b64 v[10:11], 1, v[10:11]
	v_mov_b32_e32 v13, s27
	v_add_co_u32_e64 v10, s[18:19], s26, v10
	v_addc_co_u32_e64 v11, s[18:19], v13, v11, s[18:19]
	global_store_short v[10:11], v12, off
	s_or_b64 exec, exec, s[38:39]
	s_and_saveexec_b64 s[38:39], s[16:17]
	s_cbranch_execz .LBB16_45
.LBB16_71:                              ;   in Loop: Header=BB16_12 Depth=1
	v_cvt_f16_f32_e32 v12, v65
	v_add_u32_e32 v10, 6, v0
	v_mov_b32_e32 v11, v1
	v_lshlrev_b64 v[10:11], 1, v[10:11]
	v_mov_b32_e32 v13, s27
	v_add_co_u32_e64 v10, s[18:19], s26, v10
	v_addc_co_u32_e64 v11, s[18:19], v13, v11, s[18:19]
	global_store_short v[10:11], v12, off
	s_or_b64 exec, exec, s[38:39]
	v_add_u32_e32 v0, s25, v0
	s_and_saveexec_b64 s[18:19], vcc
	s_cbranch_execz .LBB16_46
.LBB16_72:                              ;   in Loop: Header=BB16_12 Depth=1
	v_cvt_f16_f32_e32 v12, v64
	v_lshlrev_b64 v[10:11], 1, v[0:1]
	v_mov_b32_e32 v13, s27
	v_add_co_u32_e32 v10, vcc, s26, v10
	v_addc_co_u32_e32 v11, vcc, v13, v11, vcc
	global_store_short v[10:11], v12, off
	s_or_b64 exec, exec, s[18:19]
	s_and_saveexec_b64 s[18:19], s[6:7]
	s_cbranch_execz .LBB16_47
.LBB16_73:                              ;   in Loop: Header=BB16_12 Depth=1
	v_cvt_f16_f32_e32 v12, v63
	v_add_u32_e32 v10, 1, v0
	v_mov_b32_e32 v11, v1
	v_lshlrev_b64 v[10:11], 1, v[10:11]
	v_mov_b32_e32 v13, s27
	v_add_co_u32_e32 v10, vcc, s26, v10
	v_addc_co_u32_e32 v11, vcc, v13, v11, vcc
	global_store_short v[10:11], v12, off
	s_or_b64 exec, exec, s[18:19]
	s_and_saveexec_b64 s[6:7], s[8:9]
	s_cbranch_execz .LBB16_48
.LBB16_74:                              ;   in Loop: Header=BB16_12 Depth=1
	v_cvt_f16_f32_e32 v12, v62
	v_add_u32_e32 v10, 2, v0
	v_mov_b32_e32 v11, v1
	v_lshlrev_b64 v[10:11], 1, v[10:11]
	v_mov_b32_e32 v13, s27
	v_add_co_u32_e32 v10, vcc, s26, v10
	v_addc_co_u32_e32 v11, vcc, v13, v11, vcc
	global_store_short v[10:11], v12, off
	s_or_b64 exec, exec, s[6:7]
	s_and_saveexec_b64 s[6:7], s[10:11]
	s_cbranch_execz .LBB16_49
.LBB16_75:                              ;   in Loop: Header=BB16_12 Depth=1
	v_cvt_f16_f32_e32 v12, v61
	v_add_u32_e32 v10, 3, v0
	v_mov_b32_e32 v11, v1
	v_lshlrev_b64 v[10:11], 1, v[10:11]
	v_mov_b32_e32 v13, s27
	v_add_co_u32_e32 v10, vcc, s26, v10
	v_addc_co_u32_e32 v11, vcc, v13, v11, vcc
	global_store_short v[10:11], v12, off
	s_or_b64 exec, exec, s[6:7]
	s_and_saveexec_b64 s[6:7], s[12:13]
	s_cbranch_execz .LBB16_50
.LBB16_76:                              ;   in Loop: Header=BB16_12 Depth=1
	v_cvt_f16_f32_e32 v12, v60
	v_add_u32_e32 v10, 4, v0
	v_mov_b32_e32 v11, v1
	v_lshlrev_b64 v[10:11], 1, v[10:11]
	v_mov_b32_e32 v13, s27
	v_add_co_u32_e32 v10, vcc, s26, v10
	v_addc_co_u32_e32 v11, vcc, v13, v11, vcc
	global_store_short v[10:11], v12, off
	s_or_b64 exec, exec, s[6:7]
	s_and_saveexec_b64 s[6:7], s[14:15]
	s_cbranch_execz .LBB16_51
.LBB16_77:                              ;   in Loop: Header=BB16_12 Depth=1
	v_cvt_f16_f32_e32 v12, v59
	v_add_u32_e32 v10, 5, v0
	v_mov_b32_e32 v11, v1
	v_lshlrev_b64 v[10:11], 1, v[10:11]
	v_mov_b32_e32 v13, s27
	v_add_co_u32_e32 v10, vcc, s26, v10
	v_addc_co_u32_e32 v11, vcc, v13, v11, vcc
	global_store_short v[10:11], v12, off
	s_or_b64 exec, exec, s[6:7]
	s_and_b64 exec, exec, s[16:17]
	s_cbranch_execnz .LBB16_52
	s_branch .LBB16_53
.LBB16_78:
	s_endpgm
	.section	.rodata,"a",@progbits
	.p2align	6, 0x0
	.amdhsa_kernel _Z16wvSplitK_hf_big_I6__halfLi64ELi7ELi16ELi8ELi1ELi3EEviiPKT_S3_PS1_ii
		.amdhsa_group_segment_fixed_size 65536
		.amdhsa_private_segment_fixed_size 0
		.amdhsa_kernarg_size 40
		.amdhsa_user_sgpr_count 6
		.amdhsa_user_sgpr_private_segment_buffer 1
		.amdhsa_user_sgpr_dispatch_ptr 0
		.amdhsa_user_sgpr_queue_ptr 0
		.amdhsa_user_sgpr_kernarg_segment_ptr 1
		.amdhsa_user_sgpr_dispatch_id 0
		.amdhsa_user_sgpr_flat_scratch_init 0
		.amdhsa_user_sgpr_kernarg_preload_length 0
		.amdhsa_user_sgpr_kernarg_preload_offset 0
		.amdhsa_user_sgpr_private_segment_size 0
		.amdhsa_uses_dynamic_stack 0
		.amdhsa_system_sgpr_private_segment_wavefront_offset 0
		.amdhsa_system_sgpr_workgroup_id_x 1
		.amdhsa_system_sgpr_workgroup_id_y 0
		.amdhsa_system_sgpr_workgroup_id_z 0
		.amdhsa_system_sgpr_workgroup_info 0
		.amdhsa_system_vgpr_workitem_id 1
		.amdhsa_next_free_vgpr 79
		.amdhsa_next_free_sgpr 48
		.amdhsa_accum_offset 80
		.amdhsa_reserve_vcc 1
		.amdhsa_reserve_flat_scratch 0
		.amdhsa_float_round_mode_32 0
		.amdhsa_float_round_mode_16_64 0
		.amdhsa_float_denorm_mode_32 3
		.amdhsa_float_denorm_mode_16_64 3
		.amdhsa_dx10_clamp 1
		.amdhsa_ieee_mode 1
		.amdhsa_fp16_overflow 0
		.amdhsa_tg_split 0
		.amdhsa_exception_fp_ieee_invalid_op 0
		.amdhsa_exception_fp_denorm_src 0
		.amdhsa_exception_fp_ieee_div_zero 0
		.amdhsa_exception_fp_ieee_overflow 0
		.amdhsa_exception_fp_ieee_underflow 0
		.amdhsa_exception_fp_ieee_inexact 0
		.amdhsa_exception_int_div_zero 0
	.end_amdhsa_kernel
	.section	.text._Z16wvSplitK_hf_big_I6__halfLi64ELi7ELi16ELi8ELi1ELi3EEviiPKT_S3_PS1_ii,"axG",@progbits,_Z16wvSplitK_hf_big_I6__halfLi64ELi7ELi16ELi8ELi1ELi3EEviiPKT_S3_PS1_ii,comdat
.Lfunc_end16:
	.size	_Z16wvSplitK_hf_big_I6__halfLi64ELi7ELi16ELi8ELi1ELi3EEviiPKT_S3_PS1_ii, .Lfunc_end16-_Z16wvSplitK_hf_big_I6__halfLi64ELi7ELi16ELi8ELi1ELi3EEviiPKT_S3_PS1_ii
                                        ; -- End function
	.section	.AMDGPU.csdata,"",@progbits
; Kernel info:
; codeLenInByte = 5936
; NumSgprs: 52
; NumVgprs: 79
; NumAgprs: 0
; TotalNumVgprs: 79
; ScratchSize: 0
; MemoryBound: 0
; FloatMode: 240
; IeeeMode: 1
; LDSByteSize: 65536 bytes/workgroup (compile time only)
; SGPRBlocks: 6
; VGPRBlocks: 9
; NumSGPRsForWavesPerEU: 52
; NumVGPRsForWavesPerEU: 79
; AccumOffset: 80
; Occupancy: 4
; WaveLimiterHint : 0
; COMPUTE_PGM_RSRC2:SCRATCH_EN: 0
; COMPUTE_PGM_RSRC2:USER_SGPR: 6
; COMPUTE_PGM_RSRC2:TRAP_HANDLER: 0
; COMPUTE_PGM_RSRC2:TGID_X_EN: 1
; COMPUTE_PGM_RSRC2:TGID_Y_EN: 0
; COMPUTE_PGM_RSRC2:TGID_Z_EN: 0
; COMPUTE_PGM_RSRC2:TIDIG_COMP_CNT: 1
; COMPUTE_PGM_RSRC3_GFX90A:ACCUM_OFFSET: 19
; COMPUTE_PGM_RSRC3_GFX90A:TG_SPLIT: 0
	.section	.text._Z16wvSplitK_hf_sml_I6__halfLi64ELi4ELi16ELi8ELi1ELi4EEviiPKT_S3_PS1_ii,"axG",@progbits,_Z16wvSplitK_hf_sml_I6__halfLi64ELi4ELi16ELi8ELi1ELi4EEviiPKT_S3_PS1_ii,comdat
	.protected	_Z16wvSplitK_hf_sml_I6__halfLi64ELi4ELi16ELi8ELi1ELi4EEviiPKT_S3_PS1_ii ; -- Begin function _Z16wvSplitK_hf_sml_I6__halfLi64ELi4ELi16ELi8ELi1ELi4EEviiPKT_S3_PS1_ii
	.globl	_Z16wvSplitK_hf_sml_I6__halfLi64ELi4ELi16ELi8ELi1ELi4EEviiPKT_S3_PS1_ii
	.p2align	8
	.type	_Z16wvSplitK_hf_sml_I6__halfLi64ELi4ELi16ELi8ELi1ELi4EEviiPKT_S3_PS1_ii,@function
_Z16wvSplitK_hf_sml_I6__halfLi64ELi4ELi16ELi8ELi1ELi4EEviiPKT_S3_PS1_ii: ; @_Z16wvSplitK_hf_sml_I6__halfLi64ELi4ELi16ELi8ELi1ELi4EEviiPKT_S3_PS1_ii
; %bb.0:
	s_load_dwordx2 s[8:9], s[4:5], 0x0
	v_and_b32_e32 v2, 0x3ff, v0
	v_bfe_u32 v3, v0, 10, 10
	v_lshlrev_b32_e32 v36, 3, v2
	s_mov_b32 s7, 0
	s_waitcnt lgkmcnt(0)
	s_lshl_b32 s16, s8, 2
	s_cmp_lg_u32 s8, 0
	s_cselect_b64 s[2:3], -1, 0
	s_cmp_eq_u32 s8, 0
	s_cbranch_scc1 .LBB17_6
; %bb.1:
	s_load_dwordx2 s[0:1], s[4:5], 0x10
	v_lshlrev_b32_e32 v0, 4, v2
	s_min_i32 s17, s16, 0x8000
	v_lshl_add_u32 v4, v3, 10, v0
	v_lshl_add_u32 v5, v3, 9, v36
	s_mov_b64 s[10:11], 0
	v_mov_b32_e32 v1, 0
                                        ; implicit-def: $sgpr12_sgpr13
	s_branch .LBB17_3
.LBB17_2:                               ;   in Loop: Header=BB17_3 Depth=1
	s_or_b64 exec, exec, s[14:15]
	s_and_b64 s[14:15], exec, s[12:13]
	s_or_b64 s[10:11], s[14:15], s[10:11]
	s_andn2_b64 exec, exec, s[10:11]
	s_cbranch_execz .LBB17_5
.LBB17_3:                               ; =>This Inner Loop Header: Depth=1
	v_add_u32_e32 v0, s7, v5
	v_cmp_gt_u32_e32 vcc, s17, v0
	s_or_b64 s[12:13], s[12:13], exec
	s_and_saveexec_b64 s[14:15], vcc
	s_cbranch_execz .LBB17_2
; %bb.4:                                ;   in Loop: Header=BB17_3 Depth=1
	v_lshlrev_b64 v[6:7], 1, v[0:1]
	s_waitcnt lgkmcnt(0)
	v_mov_b32_e32 v0, s1
	v_add_co_u32_e32 v6, vcc, s0, v6
	v_addc_co_u32_e32 v7, vcc, v0, v7, vcc
	global_load_dwordx4 v[6:9], v[6:7], off
	s_addk_i32 s7, 0x2000
	s_cmp_ge_u32 s7, s17
	s_cselect_b64 s[18:19], -1, 0
	s_andn2_b64 s[12:13], s[12:13], exec
	s_and_b64 s[18:19], s[18:19], exec
	s_or_b64 s[12:13], s[12:13], s[18:19]
	s_waitcnt vmcnt(0)
	ds_write_b128 v4, v[6:9]
	v_add_u32_e32 v4, 0x4000, v4
	s_branch .LBB17_2
.LBB17_5:
	s_or_b64 exec, exec, s[10:11]
.LBB17_6:
	s_waitcnt lgkmcnt(0)
	s_load_dwordx2 s[0:1], s[4:5], 0x20
	s_waitcnt lgkmcnt(0)
	s_barrier
	v_cmp_gt_u32_e32 vcc, s0, v3
	s_and_saveexec_b64 s[10:11], vcc
	s_cbranch_execz .LBB17_17
; %bb.7:
	s_mul_i32 s6, s6, s0
	v_add_u32_e32 v0, s6, v3
	v_lshlrev_b32_e32 v28, 2, v0
	v_cmp_gt_u32_e32 vcc, s9, v28
	s_and_b64 exec, exec, vcc
	s_cbranch_execz .LBB17_17
; %bb.8:
	s_load_dwordx2 s[6:7], s[4:5], 0x8
	s_load_dwordx2 s[10:11], s[4:5], 0x18
	s_mul_i32 s12, s0, s1
	v_mul_lo_u32 v0, s8, v0
	s_lshl_b32 s17, s12, 2
	s_ashr_i32 s5, s8, 31
	s_mov_b32 s4, s8
	v_lshl_add_u32 v38, v0, 2, v36
	s_mul_i32 s12, s12, s8
	v_cndmask_b32_e64 v0, 0, 1, s[2:3]
	v_cmp_eq_u32_e64 s[0:1], 63, v2
	s_lshl_b64 s[4:5], s[4:5], 1
	s_mul_i32 s18, s8, 6
	v_lshlrev_b32_e32 v37, 4, v2
	s_lshl_b32 s19, s8, 1
	s_lshl_b32 s20, s12, 2
	s_mov_b64 s[12:13], 0
	v_cmp_ne_u32_e64 s[2:3], 1, v0
	v_mov_b32_e32 v31, 0
	s_branch .LBB17_10
.LBB17_9:                               ;   in Loop: Header=BB17_10 Depth=1
	s_or_b64 exec, exec, s[14:15]
	v_add_u32_e32 v28, s17, v28
	v_cmp_le_u32_e32 vcc, s9, v28
	s_or_b64 s[12:13], vcc, s[12:13]
	v_add_u32_e32 v38, s20, v38
	s_andn2_b64 exec, exec, s[12:13]
	s_cbranch_execz .LBB17_17
.LBB17_10:                              ; =>This Loop Header: Depth=1
                                        ;     Child Loop BB17_13 Depth 2
	s_mov_b32 s21, 0
	s_and_b64 vcc, exec, s[2:3]
	v_mov_b32_e32 v39, v31
	v_mov_b32_e32 v40, v31
	;; [unrolled: 1-line block ×16, first 2 shown]
	s_cbranch_vccnz .LBB17_15
; %bb.11:                               ;   in Loop: Header=BB17_10 Depth=1
	v_mov_b32_e32 v29, 0
	v_mov_b32_e32 v54, v37
	;; [unrolled: 1-line block ×17, first 2 shown]
	s_branch .LBB17_13
.LBB17_12:                              ;   in Loop: Header=BB17_13 Depth=2
	s_or_b64 exec, exec, s[14:15]
	s_addk_i32 s21, 0x200
	s_cmp_ge_u32 s21, s8
	v_add_u32_e32 v54, 0x400, v54
	s_cbranch_scc1 .LBB17_15
.LBB17_13:                              ;   Parent Loop BB17_10 Depth=1
                                        ; =>  This Inner Loop Header: Depth=2
	v_add_u32_e32 v0, s21, v36
	v_cmp_gt_u32_e32 vcc, s8, v0
	s_and_saveexec_b64 s[14:15], vcc
	s_cbranch_execz .LBB17_12
; %bb.14:                               ;   in Loop: Header=BB17_13 Depth=2
	v_add_u32_e32 v30, s21, v38
	v_lshlrev_b64 v[0:1], 1, v[30:31]
	s_waitcnt lgkmcnt(0)
	v_mov_b32_e32 v2, s7
	v_add_co_u32_e32 v0, vcc, s6, v0
	v_addc_co_u32_e32 v1, vcc, v2, v1, vcc
	global_load_dwordx4 v[20:23], v[0:1], off glc slc
	v_mov_b32_e32 v2, s5
	v_add_co_u32_e32 v0, vcc, s4, v0
	v_addc_co_u32_e32 v1, vcc, v1, v2, vcc
	global_load_dwordx4 v[8:11], v[0:1], off glc slc
	v_add_co_u32_e32 v0, vcc, s4, v0
	v_addc_co_u32_e32 v1, vcc, v1, v2, vcc
	global_load_dwordx4 v[4:7], v[0:1], off glc slc
	v_add_co_u32_e32 v0, vcc, s4, v0
	v_addc_co_u32_e32 v1, vcc, v1, v2, vcc
	v_add_u32_e32 v16, s19, v54
	v_add_u32_e32 v17, s18, v54
	global_load_dwordx4 v[0:3], v[0:1], off glc slc
	ds_read_b128 v[12:15], v54
	v_add_u32_e32 v30, s16, v54
	ds_read_b128 v[24:27], v16
	ds_read2_b32 v[34:35], v30 offset1:1
	ds_read_b128 v[16:19], v17
	ds_read2_b32 v[32:33], v30 offset0:2 offset1:3
	s_waitcnt vmcnt(3) lgkmcnt(4)
	;;#ASMSTART
	v_dot2c_f32_f16 v29, v12, v20
	;;#ASMEND
	s_waitcnt lgkmcnt(3)
	;;#ASMSTART
	v_dot2c_f32_f16 v50, v24, v20
	;;#ASMEND
	s_waitcnt lgkmcnt(2)
	;; [unrolled: 4-line block ×3, first 2 shown]
	;;#ASMSTART
	v_dot2c_f32_f16 v42, v16, v20
	;;#ASMEND
	s_waitcnt vmcnt(2)
	;;#ASMSTART
	v_dot2c_f32_f16 v53, v12, v8
	;;#ASMEND
	;;#ASMSTART
	v_dot2c_f32_f16 v49, v24, v8
	;;#ASMEND
	;;#ASMSTART
	v_dot2c_f32_f16 v45, v34, v8
	;;#ASMEND
	;;#ASMSTART
	v_dot2c_f32_f16 v41, v16, v8
	;;#ASMEND
	s_waitcnt vmcnt(1)
	;;#ASMSTART
	v_dot2c_f32_f16 v52, v12, v4
	;;#ASMEND
	;;#ASMSTART
	v_dot2c_f32_f16 v48, v24, v4
	;;#ASMEND
	;;#ASMSTART
	v_dot2c_f32_f16 v44, v34, v4
	;;#ASMEND
	;; [unrolled: 13-line block ×3, first 2 shown]
	;;#ASMSTART
	v_dot2c_f32_f16 v39, v16, v0
	;;#ASMEND
	;;#ASMSTART
	v_dot2c_f32_f16 v29, v13, v21
	;;#ASMEND
	;; [unrolled: 3-line block ×19, first 2 shown]
	s_waitcnt lgkmcnt(0)
	;;#ASMSTART
	v_dot2c_f32_f16 v46, v32, v22
	;;#ASMEND
	;;#ASMSTART
	v_dot2c_f32_f16 v42, v18, v22
	;;#ASMEND
	;; [unrolled: 3-line block ×30, first 2 shown]
	s_branch .LBB17_12
.LBB17_15:                              ;   in Loop: Header=BB17_10 Depth=1
	;;#ASMSTART
	s_nop 0
	v_add_f32 v29, v29, v29 row_shr:8 bound_ctrl:0 
	;;#ASMEND
	;;#ASMSTART
	s_nop 0
	v_add_f32 v53, v53, v53 row_shr:8 bound_ctrl:0 
	;;#ASMEND
	;; [unrolled: 4-line block ×48, first 2 shown]
	;;#ASMSTART
	s_nop 0
	v_add_f32 v29, v29, v29 wave_shr:1 bound_ctrl:0
	;;#ASMEND
	;;#ASMSTART
	s_nop 0
	v_add_f32 v53, v53, v53 wave_shr:1 bound_ctrl:0
	;;#ASMEND
	;; [unrolled: 4-line block ×16, first 2 shown]
	;;#ASMSTART
	s_nop 0
	v_add_f32 v29, v29, v29 row_bcast:15 bound_ctrl:0
	;;#ASMEND
	;;#ASMSTART
	s_nop 0
	v_add_f32 v53, v53, v53 row_bcast:15 bound_ctrl:0
	;;#ASMEND
	;; [unrolled: 4-line block ×32, first 2 shown]
	s_and_saveexec_b64 s[14:15], s[0:1]
	s_cbranch_execz .LBB17_9
; %bb.16:                               ;   in Loop: Header=BB17_10 Depth=1
	v_cvt_f16_f32_e32 v2, v29
	v_cvt_f16_f32_e32 v5, v53
	v_cvt_f16_f32_e32 v3, v52
	v_cvt_f16_f32_e32 v6, v51
	v_mov_b32_e32 v29, v31
	v_lshlrev_b64 v[0:1], 1, v[28:29]
	s_waitcnt lgkmcnt(0)
	v_mov_b32_e32 v4, s11
	v_add_co_u32_e32 v0, vcc, s10, v0
	v_addc_co_u32_e32 v1, vcc, v4, v1, vcc
	v_pack_b32_f16 v3, v3, v6
	v_pack_b32_f16 v2, v2, v5
	global_store_dwordx2 v[0:1], v[2:3], off
	v_add_u32_e32 v30, s9, v28
	v_cvt_f16_f32_e32 v2, v50
	v_lshlrev_b64 v[0:1], 1, v[30:31]
	v_add_co_u32_e32 v0, vcc, s10, v0
	v_addc_co_u32_e32 v1, vcc, v4, v1, vcc
	global_store_short v[0:1], v2, off
	v_cvt_f16_f32_e32 v2, v49
	v_add_u32_e32 v0, 1, v30
	v_mov_b32_e32 v1, v31
	v_lshlrev_b64 v[0:1], 1, v[0:1]
	v_add_co_u32_e32 v0, vcc, s10, v0
	v_addc_co_u32_e32 v1, vcc, v4, v1, vcc
	global_store_short v[0:1], v2, off
	v_cvt_f16_f32_e32 v2, v48
	v_add_u32_e32 v0, 2, v30
	v_mov_b32_e32 v1, v31
	;; [unrolled: 7-line block ×3, first 2 shown]
	v_lshlrev_b64 v[0:1], 1, v[0:1]
	v_add_co_u32_e32 v0, vcc, s10, v0
	v_addc_co_u32_e32 v1, vcc, v4, v1, vcc
	global_store_short v[0:1], v2, off
	v_cvt_f16_f32_e32 v2, v46
	v_cvt_f16_f32_e32 v3, v45
	v_add_u32_e32 v30, s9, v30
	v_lshlrev_b64 v[0:1], 1, v[30:31]
	v_add_co_u32_e32 v0, vcc, s10, v0
	v_addc_co_u32_e32 v1, vcc, v4, v1, vcc
	v_pack_b32_f16 v2, v2, v3
	global_store_dword v[0:1], v2, off
	v_cvt_f16_f32_e32 v2, v44
	v_add_u32_e32 v0, 2, v30
	v_mov_b32_e32 v1, v31
	v_lshlrev_b64 v[0:1], 1, v[0:1]
	v_add_co_u32_e32 v0, vcc, s10, v0
	v_addc_co_u32_e32 v1, vcc, v4, v1, vcc
	global_store_short v[0:1], v2, off
	v_cvt_f16_f32_e32 v2, v43
	v_add_u32_e32 v0, 3, v30
	v_mov_b32_e32 v1, v31
	v_lshlrev_b64 v[0:1], 1, v[0:1]
	v_add_co_u32_e32 v0, vcc, s10, v0
	v_addc_co_u32_e32 v1, vcc, v4, v1, vcc
	global_store_short v[0:1], v2, off
	v_add_u32_e32 v30, s9, v30
	v_cvt_f16_f32_e32 v2, v42
	v_lshlrev_b64 v[0:1], 1, v[30:31]
	v_add_co_u32_e32 v0, vcc, s10, v0
	v_addc_co_u32_e32 v1, vcc, v4, v1, vcc
	global_store_short v[0:1], v2, off
	v_cvt_f16_f32_e32 v2, v41
	v_add_u32_e32 v0, 1, v30
	v_mov_b32_e32 v1, v31
	v_lshlrev_b64 v[0:1], 1, v[0:1]
	v_add_co_u32_e32 v0, vcc, s10, v0
	v_addc_co_u32_e32 v1, vcc, v4, v1, vcc
	global_store_short v[0:1], v2, off
	v_cvt_f16_f32_e32 v2, v40
	v_add_u32_e32 v0, 2, v30
	v_mov_b32_e32 v1, v31
	v_lshlrev_b64 v[0:1], 1, v[0:1]
	v_add_co_u32_e32 v0, vcc, s10, v0
	v_addc_co_u32_e32 v1, vcc, v4, v1, vcc
	global_store_short v[0:1], v2, off
	v_cvt_f16_f32_e32 v2, v39
	v_add_u32_e32 v30, 3, v30
	v_lshlrev_b64 v[0:1], 1, v[30:31]
	v_add_co_u32_e32 v0, vcc, s10, v0
	v_addc_co_u32_e32 v1, vcc, v4, v1, vcc
	global_store_short v[0:1], v2, off
	s_branch .LBB17_9
.LBB17_17:
	s_endpgm
	.section	.rodata,"a",@progbits
	.p2align	6, 0x0
	.amdhsa_kernel _Z16wvSplitK_hf_sml_I6__halfLi64ELi4ELi16ELi8ELi1ELi4EEviiPKT_S3_PS1_ii
		.amdhsa_group_segment_fixed_size 65536
		.amdhsa_private_segment_fixed_size 0
		.amdhsa_kernarg_size 40
		.amdhsa_user_sgpr_count 6
		.amdhsa_user_sgpr_private_segment_buffer 1
		.amdhsa_user_sgpr_dispatch_ptr 0
		.amdhsa_user_sgpr_queue_ptr 0
		.amdhsa_user_sgpr_kernarg_segment_ptr 1
		.amdhsa_user_sgpr_dispatch_id 0
		.amdhsa_user_sgpr_flat_scratch_init 0
		.amdhsa_user_sgpr_kernarg_preload_length 0
		.amdhsa_user_sgpr_kernarg_preload_offset 0
		.amdhsa_user_sgpr_private_segment_size 0
		.amdhsa_uses_dynamic_stack 0
		.amdhsa_system_sgpr_private_segment_wavefront_offset 0
		.amdhsa_system_sgpr_workgroup_id_x 1
		.amdhsa_system_sgpr_workgroup_id_y 0
		.amdhsa_system_sgpr_workgroup_id_z 0
		.amdhsa_system_sgpr_workgroup_info 0
		.amdhsa_system_vgpr_workitem_id 1
		.amdhsa_next_free_vgpr 55
		.amdhsa_next_free_sgpr 22
		.amdhsa_accum_offset 56
		.amdhsa_reserve_vcc 1
		.amdhsa_reserve_flat_scratch 0
		.amdhsa_float_round_mode_32 0
		.amdhsa_float_round_mode_16_64 0
		.amdhsa_float_denorm_mode_32 3
		.amdhsa_float_denorm_mode_16_64 3
		.amdhsa_dx10_clamp 1
		.amdhsa_ieee_mode 1
		.amdhsa_fp16_overflow 0
		.amdhsa_tg_split 0
		.amdhsa_exception_fp_ieee_invalid_op 0
		.amdhsa_exception_fp_denorm_src 0
		.amdhsa_exception_fp_ieee_div_zero 0
		.amdhsa_exception_fp_ieee_overflow 0
		.amdhsa_exception_fp_ieee_underflow 0
		.amdhsa_exception_fp_ieee_inexact 0
		.amdhsa_exception_int_div_zero 0
	.end_amdhsa_kernel
	.section	.text._Z16wvSplitK_hf_sml_I6__halfLi64ELi4ELi16ELi8ELi1ELi4EEviiPKT_S3_PS1_ii,"axG",@progbits,_Z16wvSplitK_hf_sml_I6__halfLi64ELi4ELi16ELi8ELi1ELi4EEviiPKT_S3_PS1_ii,comdat
.Lfunc_end17:
	.size	_Z16wvSplitK_hf_sml_I6__halfLi64ELi4ELi16ELi8ELi1ELi4EEviiPKT_S3_PS1_ii, .Lfunc_end17-_Z16wvSplitK_hf_sml_I6__halfLi64ELi4ELi16ELi8ELi1ELi4EEviiPKT_S3_PS1_ii
                                        ; -- End function
	.section	.AMDGPU.csdata,"",@progbits
; Kernel info:
; codeLenInByte = 3308
; NumSgprs: 26
; NumVgprs: 55
; NumAgprs: 0
; TotalNumVgprs: 55
; ScratchSize: 0
; MemoryBound: 0
; FloatMode: 240
; IeeeMode: 1
; LDSByteSize: 65536 bytes/workgroup (compile time only)
; SGPRBlocks: 3
; VGPRBlocks: 6
; NumSGPRsForWavesPerEU: 26
; NumVGPRsForWavesPerEU: 55
; AccumOffset: 56
; Occupancy: 4
; WaveLimiterHint : 0
; COMPUTE_PGM_RSRC2:SCRATCH_EN: 0
; COMPUTE_PGM_RSRC2:USER_SGPR: 6
; COMPUTE_PGM_RSRC2:TRAP_HANDLER: 0
; COMPUTE_PGM_RSRC2:TGID_X_EN: 1
; COMPUTE_PGM_RSRC2:TGID_Y_EN: 0
; COMPUTE_PGM_RSRC2:TGID_Z_EN: 0
; COMPUTE_PGM_RSRC2:TIDIG_COMP_CNT: 1
; COMPUTE_PGM_RSRC3_GFX90A:ACCUM_OFFSET: 13
; COMPUTE_PGM_RSRC3_GFX90A:TG_SPLIT: 0
	.section	.text._Z12wvSplitK_hf_I6__halfLi64ELi7ELi16ELi8ELi1ELi4EEviiPKT_S3_PS1_ii,"axG",@progbits,_Z12wvSplitK_hf_I6__halfLi64ELi7ELi16ELi8ELi1ELi4EEviiPKT_S3_PS1_ii,comdat
	.protected	_Z12wvSplitK_hf_I6__halfLi64ELi7ELi16ELi8ELi1ELi4EEviiPKT_S3_PS1_ii ; -- Begin function _Z12wvSplitK_hf_I6__halfLi64ELi7ELi16ELi8ELi1ELi4EEviiPKT_S3_PS1_ii
	.globl	_Z12wvSplitK_hf_I6__halfLi64ELi7ELi16ELi8ELi1ELi4EEviiPKT_S3_PS1_ii
	.p2align	8
	.type	_Z12wvSplitK_hf_I6__halfLi64ELi7ELi16ELi8ELi1ELi4EEviiPKT_S3_PS1_ii,@function
_Z12wvSplitK_hf_I6__halfLi64ELi7ELi16ELi8ELi1ELi4EEviiPKT_S3_PS1_ii: ; @_Z12wvSplitK_hf_I6__halfLi64ELi7ELi16ELi8ELi1ELi4EEviiPKT_S3_PS1_ii
; %bb.0:
	s_load_dwordx2 s[2:3], s[4:5], 0x20
	s_load_dwordx2 s[18:19], s[4:5], 0x0
	;; [unrolled: 1-line block ×3, first 2 shown]
	v_bfe_u32 v9, v0, 10, 10
	s_mov_b32 s8, 1
	s_waitcnt lgkmcnt(0)
	s_mul_i32 s6, s6, s2
	v_add_u32_e32 v1, s6, v9
	v_mul_lo_u32 v54, v1, 7
	v_add_u32_e32 v1, 7, v54
	v_cmp_gt_u32_e32 vcc, s19, v54
	v_cmp_le_u32_e64 s[0:1], s19, v1
	s_mov_b32 s9, s8
	s_mov_b32 s10, s8
	;; [unrolled: 1-line block ×6, first 2 shown]
	v_mov_b32_e32 v2, s8
	s_and_b64 s[6:7], vcc, s[0:1]
	v_mov_b32_e32 v3, s9
	v_mov_b32_e32 v4, s10
	;; [unrolled: 1-line block ×6, first 2 shown]
	s_and_saveexec_b64 s[0:1], s[6:7]
	s_cbranch_execz .LBB18_6
; %bb.1:
	s_add_i32 s15, s19, -7
	v_mov_b32_e32 v2, s8
	v_cmp_ne_u32_e32 vcc, s15, v54
	v_mov_b32_e32 v3, s9
	v_mov_b32_e32 v4, s10
	;; [unrolled: 1-line block ×6, first 2 shown]
	s_and_saveexec_b64 s[6:7], vcc
	s_cbranch_execz .LBB18_5
; %bb.2:
	v_subrev_u32_e32 v1, s15, v54
	v_cmp_lt_u32_e32 vcc, 1, v1
	v_cndmask_b32_e32 v10, 1, v1, vcc
	s_mov_b64 s[16:17], 0
	s_mov_b64 s[22:23], 0
	s_mov_b32 s9, s8
	s_mov_b32 s10, s8
	;; [unrolled: 1-line block ×6, first 2 shown]
.LBB18_3:                               ; =>This Inner Loop Header: Depth=1
	s_cmp_lg_u32 s22, 6
	s_cselect_b32 s14, s14, 0
	s_cmp_lg_u32 s22, 5
	s_cselect_b32 s13, s13, 0
	;; [unrolled: 2-line block ×7, first 2 shown]
	s_add_u32 s22, s22, 1
	s_addc_u32 s23, s23, 0
	v_cmp_eq_u32_e32 vcc, s22, v10
	v_mov_b32_e32 v2, s8
	s_or_b64 s[16:17], vcc, s[16:17]
	v_mov_b32_e32 v3, s9
	v_mov_b32_e32 v4, s10
	;; [unrolled: 1-line block ×6, first 2 shown]
	s_andn2_b64 exec, exec, s[16:17]
	s_cbranch_execnz .LBB18_3
; %bb.4:
	s_or_b64 exec, exec, s[16:17]
	v_mov_b32_e32 v54, s15
.LBB18_5:
	s_or_b64 exec, exec, s[6:7]
.LBB18_6:
	s_or_b64 exec, exec, s[0:1]
	s_lshl_b32 s33, s18, 2
	v_and_b32_e32 v12, 0x3ff, v0
	s_cmp_lg_u32 s18, 0
	v_lshlrev_b32_e32 v0, 3, v12
	s_mov_b32 s12, 0
	s_cselect_b64 s[6:7], -1, 0
	s_cmp_eq_u32 s18, 0
	v_lshlrev_b32_e32 v1, 4, v12
	s_cbranch_scc1 .LBB18_12
; %bb.7:
	v_lshlrev_b32_e32 v10, 4, v12
	s_min_i32 s13, s33, 0x8000
	v_lshl_add_u32 v13, v9, 10, v10
	v_lshl_add_u32 v14, v9, 9, v0
	s_mov_b64 s[0:1], 0
	v_mov_b32_e32 v11, 0
                                        ; implicit-def: $sgpr8_sgpr9
	s_branch .LBB18_9
.LBB18_8:                               ;   in Loop: Header=BB18_9 Depth=1
	s_or_b64 exec, exec, s[10:11]
	s_and_b64 s[10:11], exec, s[8:9]
	s_or_b64 s[0:1], s[10:11], s[0:1]
	s_andn2_b64 exec, exec, s[0:1]
	s_cbranch_execz .LBB18_11
.LBB18_9:                               ; =>This Inner Loop Header: Depth=1
	v_add_u32_e32 v10, s12, v14
	v_cmp_gt_u32_e32 vcc, s13, v10
	s_or_b64 s[8:9], s[8:9], exec
	s_and_saveexec_b64 s[10:11], vcc
	s_cbranch_execz .LBB18_8
; %bb.10:                               ;   in Loop: Header=BB18_9 Depth=1
	v_lshlrev_b64 v[16:17], 1, v[10:11]
	v_mov_b32_e32 v10, s21
	v_add_co_u32_e32 v16, vcc, s20, v16
	v_addc_co_u32_e32 v17, vcc, v10, v17, vcc
	global_load_dwordx4 v[16:19], v[16:17], off
	s_addk_i32 s12, 0x2000
	s_cmp_ge_u32 s12, s13
	s_cselect_b64 s[14:15], -1, 0
	s_andn2_b64 s[8:9], s[8:9], exec
	s_and_b64 s[14:15], s[14:15], exec
	s_or_b64 s[8:9], s[8:9], s[14:15]
	s_waitcnt vmcnt(0)
	ds_write_b128 v13, v[16:19]
	v_add_u32_e32 v13, 0x4000, v13
	s_branch .LBB18_8
.LBB18_11:
	s_or_b64 exec, exec, s[0:1]
.LBB18_12:
	v_cmp_gt_u32_e32 vcc, s2, v9
	v_cmp_gt_u32_e64 s[0:1], s19, v54
	s_and_b64 s[0:1], vcc, s[0:1]
	s_waitcnt lgkmcnt(0)
	s_barrier
	s_and_saveexec_b64 s[8:9], s[0:1]
	s_cbranch_execz .LBB18_108
; %bb.13:
	s_load_dwordx2 s[22:23], s[4:5], 0x8
	s_load_dwordx2 s[24:25], s[4:5], 0x18
	s_mul_i32 s36, s2, s3
	s_ashr_i32 s3, s18, 31
	s_mov_b32 s2, s18
	s_lshl_b64 s[26:27], s[2:3], 1
	s_lshl_b32 s38, s18, 1
	v_mad_u64_u32 v[56:57], s[2:3], s18, 3, v[0:1]
	v_cndmask_b32_e64 v10, 0, 1, s[6:7]
	v_cmp_eq_u32_e64 s[0:1], 63, v12
	s_mul_i32 s36, s36, 7
	s_add_i32 s37, s19, -7
	v_add_u32_e32 v9, s38, v0
	s_mul_i32 s39, s18, 6
	v_add_u32_e32 v57, s18, v0
	s_mov_b64 s[28:29], 0
	v_cmp_ne_u32_e64 s[2:3], 1, v10
	v_mov_b32_e32 v59, 0
	s_movk_i32 s40, 0x7fff
                                        ; implicit-def: $vgpr34_vgpr35_vgpr36_vgpr37
                                        ; implicit-def: $vgpr30_vgpr31_vgpr32_vgpr33
                                        ; implicit-def: $vgpr26_vgpr27_vgpr28_vgpr29
                                        ; implicit-def: $vgpr22_vgpr23_vgpr24_vgpr25
                                        ; implicit-def: $vgpr18_vgpr19_vgpr20_vgpr21
                                        ; implicit-def: $vgpr14_vgpr15_vgpr16_vgpr17
                                        ; implicit-def: $vgpr10_vgpr11_vgpr12_vgpr13
                                        ; implicit-def: $vgpr40_vgpr41
                                        ; implicit-def: $vgpr44_vgpr45
                                        ; implicit-def: $vgpr48_vgpr49
                                        ; implicit-def: $vgpr52_vgpr53
	s_branch .LBB18_16
.LBB18_14:                              ;   in Loop: Header=BB18_16 Depth=1
	s_or_b64 exec, exec, s[8:9]
	v_mov_b32_e32 v54, s37
.LBB18_15:                              ;   in Loop: Header=BB18_16 Depth=1
	s_or_b64 exec, exec, s[6:7]
	v_cmp_le_u32_e32 vcc, s19, v54
	s_or_b64 s[28:29], vcc, s[28:29]
	s_andn2_b64 exec, exec, s[28:29]
	s_cbranch_execz .LBB18_108
.LBB18_16:                              ; =>This Loop Header: Depth=1
                                        ;     Child Loop BB18_19 Depth 2
                                        ;     Child Loop BB18_79 Depth 2
	s_and_b64 vcc, exec, s[2:3]
	s_mov_b32 s10, 0
	s_cbranch_vccnz .LBB18_45
; %bb.17:                               ;   in Loop: Header=BB18_16 Depth=1
	v_mad_u64_u32 v[60:61], s[4:5], v54, s18, v[0:1]
	v_mov_b32_e32 v61, 0
	v_mov_b32_e32 v90, v1
	;; [unrolled: 1-line block ×29, first 2 shown]
	s_branch .LBB18_19
.LBB18_18:                              ;   in Loop: Header=BB18_19 Depth=2
	s_or_b64 exec, exec, s[4:5]
	s_addk_i32 s10, 0x200
	s_cmp_ge_u32 s10, s18
	v_add_u32_e32 v90, 0x400, v90
	s_cbranch_scc1 .LBB18_46
.LBB18_19:                              ;   Parent Loop BB18_16 Depth=1
                                        ; =>  This Inner Loop Header: Depth=2
	v_add_u32_e32 v62, s10, v0
	v_cmp_gt_u32_e32 vcc, s18, v62
	s_and_saveexec_b64 s[6:7], vcc
	s_cbranch_execnz .LBB18_24
; %bb.20:                               ;   in Loop: Header=BB18_19 Depth=2
	s_or_b64 exec, exec, s[6:7]
	s_and_saveexec_b64 s[4:5], vcc
	s_cbranch_execnz .LBB18_41
.LBB18_21:                              ;   in Loop: Header=BB18_19 Depth=2
	s_or_b64 exec, exec, s[4:5]
	s_and_saveexec_b64 s[4:5], vcc
	s_cbranch_execnz .LBB18_42
.LBB18_22:                              ;   in Loop: Header=BB18_19 Depth=2
	s_or_b64 exec, exec, s[4:5]
	s_and_saveexec_b64 s[4:5], vcc
	s_cbranch_execnz .LBB18_43
.LBB18_23:                              ;   in Loop: Header=BB18_19 Depth=2
	s_or_b64 exec, exec, s[4:5]
	s_and_saveexec_b64 s[4:5], vcc
	s_cbranch_execz .LBB18_18
	s_branch .LBB18_44
.LBB18_24:                              ;   in Loop: Header=BB18_19 Depth=2
	v_add_u32_e32 v58, s10, v60
	s_waitcnt vmcnt(6)
	v_lshlrev_b64 v[10:11], 1, v[58:59]
	s_waitcnt lgkmcnt(0)
	v_mov_b32_e32 v12, s23
	s_waitcnt vmcnt(4)
	v_add_co_u32_e64 v18, s[4:5], s22, v10
	v_addc_co_u32_e64 v19, s[4:5], v12, v11, s[4:5]
	s_waitcnt vmcnt(0)
	v_mov_b32_e32 v36, s27
	v_add_co_u32_e64 v20, s[4:5], s26, v18
	v_addc_co_u32_e64 v21, s[4:5], v19, v36, s[4:5]
	global_load_dwordx4 v[10:13], v[18:19], off glc slc
	global_load_dwordx4 v[14:17], v[20:21], off glc slc
	v_add_co_u32_e64 v18, s[4:5], s26, v20
	v_addc_co_u32_e64 v19, s[4:5], v21, v36, s[4:5]
	v_add_co_u32_e64 v26, s[4:5], s26, v18
	v_addc_co_u32_e64 v27, s[4:5], v19, v36, s[4:5]
	global_load_dwordx4 v[18:21], v[18:19], off glc slc
	s_nop 0
	global_load_dwordx4 v[22:25], v[26:27], off glc slc
	v_add_co_u32_e64 v26, s[4:5], s26, v26
	v_addc_co_u32_e64 v27, s[4:5], v27, v36, s[4:5]
	v_add_co_u32_e64 v34, s[4:5], s26, v26
	v_addc_co_u32_e64 v35, s[4:5], v27, v36, s[4:5]
	global_load_dwordx4 v[26:29], v[26:27], off glc slc
	s_nop 0
	global_load_dwordx4 v[30:33], v[34:35], off glc slc
	v_add_co_u32_e64 v34, s[4:5], s26, v34
	v_addc_co_u32_e64 v35, s[4:5], v35, v36, s[4:5]
	global_load_dwordx4 v[34:37], v[34:35], off glc slc
	v_cmp_lt_u32_e64 s[4:5], s40, v62
                                        ; implicit-def: $vgpr38_vgpr39
	s_and_saveexec_b64 s[8:9], s[4:5]
	s_xor_b64 s[8:9], exec, s[8:9]
	s_cbranch_execz .LBB18_26
; %bb.25:                               ;   in Loop: Header=BB18_19 Depth=2
	v_mov_b32_e32 v63, v59
	v_lshlrev_b64 v[38:39], 1, v[62:63]
	v_mov_b32_e32 v40, s21
	v_add_co_u32_e64 v38, s[4:5], s20, v38
	v_addc_co_u32_e64 v39, s[4:5], v40, v39, s[4:5]
	global_load_dwordx4 v[38:41], v[38:39], off
.LBB18_26:                              ;   in Loop: Header=BB18_19 Depth=2
	s_andn2_saveexec_b64 s[4:5], s[8:9]
	s_cbranch_execz .LBB18_28
; %bb.27:                               ;   in Loop: Header=BB18_19 Depth=2
	s_waitcnt vmcnt(0)
	ds_read_b128 v[38:41], v90
.LBB18_28:                              ;   in Loop: Header=BB18_19 Depth=2
	s_or_b64 exec, exec, s[4:5]
	v_add_u32_e32 v58, s10, v57
	v_cmp_lt_u32_e64 s[4:5], s40, v58
                                        ; implicit-def: $vgpr42_vgpr43
	s_and_saveexec_b64 s[8:9], s[4:5]
	s_xor_b64 s[8:9], exec, s[8:9]
	s_cbranch_execz .LBB18_30
; %bb.29:                               ;   in Loop: Header=BB18_19 Depth=2
	v_lshlrev_b64 v[42:43], 1, v[58:59]
	v_mov_b32_e32 v44, s21
	v_add_co_u32_e64 v42, s[4:5], s20, v42
	v_addc_co_u32_e64 v43, s[4:5], v44, v43, s[4:5]
	global_load_dwordx4 v[42:45], v[42:43], off
.LBB18_30:                              ;   in Loop: Header=BB18_19 Depth=2
	s_andn2_saveexec_b64 s[4:5], s[8:9]
	s_cbranch_execz .LBB18_32
; %bb.31:                               ;   in Loop: Header=BB18_19 Depth=2
	s_waitcnt vmcnt(0)
	v_add_u32_e32 v42, s38, v90
	ds_read_b128 v[42:45], v42
.LBB18_32:                              ;   in Loop: Header=BB18_19 Depth=2
	s_or_b64 exec, exec, s[4:5]
	v_add_u32_e32 v58, s10, v9
	v_cmp_lt_u32_e64 s[4:5], s40, v58
                                        ; implicit-def: $vgpr46_vgpr47
	s_and_saveexec_b64 s[8:9], s[4:5]
	s_xor_b64 s[8:9], exec, s[8:9]
	s_cbranch_execz .LBB18_34
; %bb.33:                               ;   in Loop: Header=BB18_19 Depth=2
	v_lshlrev_b64 v[46:47], 1, v[58:59]
	v_mov_b32_e32 v48, s21
	v_add_co_u32_e64 v46, s[4:5], s20, v46
	v_addc_co_u32_e64 v47, s[4:5], v48, v47, s[4:5]
	global_load_dwordx4 v[46:49], v[46:47], off
.LBB18_34:                              ;   in Loop: Header=BB18_19 Depth=2
	s_andn2_saveexec_b64 s[4:5], s[8:9]
	s_cbranch_execz .LBB18_36
; %bb.35:                               ;   in Loop: Header=BB18_19 Depth=2
	s_waitcnt vmcnt(0)
	v_add_u32_e32 v48, s33, v90
	ds_read2_b32 v[46:47], v48 offset1:1
	ds_read2_b32 v[48:49], v48 offset0:2 offset1:3
.LBB18_36:                              ;   in Loop: Header=BB18_19 Depth=2
	s_or_b64 exec, exec, s[4:5]
	v_add_u32_e32 v58, s10, v56
	v_cmp_lt_u32_e64 s[4:5], s40, v58
                                        ; implicit-def: $vgpr50_vgpr51
	s_and_saveexec_b64 s[8:9], s[4:5]
	s_xor_b64 s[8:9], exec, s[8:9]
	s_cbranch_execz .LBB18_38
; %bb.37:                               ;   in Loop: Header=BB18_19 Depth=2
	v_lshlrev_b64 v[50:51], 1, v[58:59]
	v_mov_b32_e32 v52, s21
	v_add_co_u32_e64 v50, s[4:5], s20, v50
	v_addc_co_u32_e64 v51, s[4:5], v52, v51, s[4:5]
	global_load_dwordx4 v[50:53], v[50:51], off
.LBB18_38:                              ;   in Loop: Header=BB18_19 Depth=2
	s_andn2_saveexec_b64 s[4:5], s[8:9]
	s_cbranch_execz .LBB18_40
; %bb.39:                               ;   in Loop: Header=BB18_19 Depth=2
	s_waitcnt vmcnt(0)
	v_add_u32_e32 v50, s39, v90
	ds_read_b128 v[50:53], v50
.LBB18_40:                              ;   in Loop: Header=BB18_19 Depth=2
	s_or_b64 exec, exec, s[4:5]
	s_or_b64 exec, exec, s[6:7]
	s_and_saveexec_b64 s[4:5], vcc
	s_cbranch_execz .LBB18_21
.LBB18_41:                              ;   in Loop: Header=BB18_19 Depth=2
	s_waitcnt vmcnt(0) lgkmcnt(0)
	;;#ASMSTART
	v_dot2c_f32_f16 v55, v38, v10
	;;#ASMEND
	;;#ASMSTART
	v_dot2c_f32_f16 v89, v38, v14
	;;#ASMEND
	;; [unrolled: 3-line block ×28, first 2 shown]
	s_or_b64 exec, exec, s[4:5]
	s_and_saveexec_b64 s[4:5], vcc
	s_cbranch_execz .LBB18_22
.LBB18_42:                              ;   in Loop: Header=BB18_19 Depth=2
	s_waitcnt vmcnt(0) lgkmcnt(0)
	;;#ASMSTART
	v_dot2c_f32_f16 v83, v42, v10
	;;#ASMEND
	;;#ASMSTART
	v_dot2c_f32_f16 v82, v42, v14
	;;#ASMEND
	;;#ASMSTART
	v_dot2c_f32_f16 v81, v42, v18
	;;#ASMEND
	;;#ASMSTART
	v_dot2c_f32_f16 v80, v42, v22
	;;#ASMEND
	;;#ASMSTART
	v_dot2c_f32_f16 v79, v42, v26
	;;#ASMEND
	;;#ASMSTART
	v_dot2c_f32_f16 v78, v42, v30
	;;#ASMEND
	;;#ASMSTART
	v_dot2c_f32_f16 v77, v42, v34
	;;#ASMEND
	;;#ASMSTART
	v_dot2c_f32_f16 v83, v43, v11
	;;#ASMEND
	;;#ASMSTART
	v_dot2c_f32_f16 v82, v43, v15
	;;#ASMEND
	;;#ASMSTART
	v_dot2c_f32_f16 v81, v43, v19
	;;#ASMEND
	;;#ASMSTART
	v_dot2c_f32_f16 v80, v43, v23
	;;#ASMEND
	;;#ASMSTART
	v_dot2c_f32_f16 v79, v43, v27
	;;#ASMEND
	;;#ASMSTART
	v_dot2c_f32_f16 v78, v43, v31
	;;#ASMEND
	;;#ASMSTART
	v_dot2c_f32_f16 v77, v43, v35
	;;#ASMEND
	;;#ASMSTART
	v_dot2c_f32_f16 v83, v44, v12
	;;#ASMEND
	;;#ASMSTART
	v_dot2c_f32_f16 v82, v44, v16
	;;#ASMEND
	;;#ASMSTART
	v_dot2c_f32_f16 v81, v44, v20
	;;#ASMEND
	;;#ASMSTART
	v_dot2c_f32_f16 v80, v44, v24
	;;#ASMEND
	;;#ASMSTART
	v_dot2c_f32_f16 v79, v44, v28
	;;#ASMEND
	;;#ASMSTART
	v_dot2c_f32_f16 v78, v44, v32
	;;#ASMEND
	;;#ASMSTART
	v_dot2c_f32_f16 v77, v44, v36
	;;#ASMEND
	;;#ASMSTART
	v_dot2c_f32_f16 v83, v45, v13
	;;#ASMEND
	;;#ASMSTART
	v_dot2c_f32_f16 v82, v45, v17
	;;#ASMEND
	;;#ASMSTART
	v_dot2c_f32_f16 v81, v45, v21
	;;#ASMEND
	;;#ASMSTART
	v_dot2c_f32_f16 v80, v45, v25
	;;#ASMEND
	;;#ASMSTART
	v_dot2c_f32_f16 v79, v45, v29
	;;#ASMEND
	;;#ASMSTART
	v_dot2c_f32_f16 v78, v45, v33
	;;#ASMEND
	;;#ASMSTART
	v_dot2c_f32_f16 v77, v45, v37
	;;#ASMEND
	s_or_b64 exec, exec, s[4:5]
	s_and_saveexec_b64 s[4:5], vcc
	s_cbranch_execz .LBB18_23
.LBB18_43:                              ;   in Loop: Header=BB18_19 Depth=2
	s_waitcnt vmcnt(0) lgkmcnt(0)
	;;#ASMSTART
	v_dot2c_f32_f16 v76, v46, v10
	;;#ASMEND
	;;#ASMSTART
	v_dot2c_f32_f16 v75, v46, v14
	;;#ASMEND
	;; [unrolled: 3-line block ×28, first 2 shown]
	s_or_b64 exec, exec, s[4:5]
	s_and_saveexec_b64 s[4:5], vcc
	s_cbranch_execz .LBB18_18
.LBB18_44:                              ;   in Loop: Header=BB18_19 Depth=2
	s_waitcnt vmcnt(0) lgkmcnt(0)
	;;#ASMSTART
	v_dot2c_f32_f16 v69, v50, v10
	;;#ASMEND
	;;#ASMSTART
	v_dot2c_f32_f16 v68, v50, v14
	;;#ASMEND
	;; [unrolled: 3-line block ×28, first 2 shown]
	s_branch .LBB18_18
.LBB18_45:                              ;   in Loop: Header=BB18_16 Depth=1
	v_mov_b32_e32 v55, v59
	v_mov_b32_e32 v89, v59
	;; [unrolled: 1-line block ×28, first 2 shown]
.LBB18_46:                              ;   in Loop: Header=BB18_16 Depth=1
	;;#ASMSTART
	s_nop 0
	v_add_f32 v55, v55, v55 row_shr:8 bound_ctrl:0 
	;;#ASMEND
	;;#ASMSTART
	s_nop 0
	v_add_f32 v89, v89, v89 row_shr:8 bound_ctrl:0 
	;;#ASMEND
	;; [unrolled: 4-line block ×84, first 2 shown]
	;;#ASMSTART
	s_nop 0
	v_add_f32 v55, v55, v55 wave_shr:1 bound_ctrl:0
	;;#ASMEND
	;;#ASMSTART
	s_nop 0
	v_add_f32 v89, v89, v89 wave_shr:1 bound_ctrl:0
	;;#ASMEND
	;; [unrolled: 4-line block ×28, first 2 shown]
	;;#ASMSTART
	s_nop 0
	v_add_f32 v55, v55, v55 row_bcast:15 bound_ctrl:0
	;;#ASMEND
	;;#ASMSTART
	s_nop 0
	v_add_f32 v89, v89, v89 row_bcast:15 bound_ctrl:0
	;;#ASMEND
	;; [unrolled: 4-line block ×56, first 2 shown]
	s_and_saveexec_b64 s[30:31], s[0:1]
	s_cbranch_execz .LBB18_76
; %bb.47:                               ;   in Loop: Header=BB18_16 Depth=1
	v_cmp_ne_u32_e32 vcc, 0, v2
	s_and_saveexec_b64 s[6:7], vcc
	s_cbranch_execnz .LBB18_81
; %bb.48:                               ;   in Loop: Header=BB18_16 Depth=1
	s_or_b64 exec, exec, s[6:7]
	v_cmp_ne_u32_e64 s[4:5], 0, v3
	s_and_saveexec_b64 s[8:9], s[4:5]
	s_cbranch_execnz .LBB18_82
.LBB18_49:                              ;   in Loop: Header=BB18_16 Depth=1
	s_or_b64 exec, exec, s[8:9]
	v_cmp_ne_u32_e64 s[6:7], 0, v4
	s_and_saveexec_b64 s[10:11], s[6:7]
	s_cbranch_execnz .LBB18_83
.LBB18_50:                              ;   in Loop: Header=BB18_16 Depth=1
	s_or_b64 exec, exec, s[10:11]
	v_cmp_ne_u32_e64 s[8:9], 0, v5
	s_and_saveexec_b64 s[12:13], s[8:9]
	s_cbranch_execnz .LBB18_84
.LBB18_51:                              ;   in Loop: Header=BB18_16 Depth=1
	s_or_b64 exec, exec, s[12:13]
	v_cmp_ne_u32_e64 s[10:11], 0, v6
	s_and_saveexec_b64 s[14:15], s[10:11]
	s_cbranch_execnz .LBB18_85
.LBB18_52:                              ;   in Loop: Header=BB18_16 Depth=1
	s_or_b64 exec, exec, s[14:15]
	v_cmp_ne_u32_e64 s[12:13], 0, v7
	s_and_saveexec_b64 s[16:17], s[12:13]
	s_cbranch_execnz .LBB18_86
.LBB18_53:                              ;   in Loop: Header=BB18_16 Depth=1
	s_or_b64 exec, exec, s[16:17]
	v_cmp_ne_u32_e64 s[14:15], 0, v8
	s_and_saveexec_b64 s[34:35], s[14:15]
	s_cbranch_execnz .LBB18_87
.LBB18_54:                              ;   in Loop: Header=BB18_16 Depth=1
	s_or_b64 exec, exec, s[34:35]
	v_add_u32_e32 v58, s19, v54
	s_and_saveexec_b64 s[34:35], vcc
	s_cbranch_execnz .LBB18_88
.LBB18_55:                              ;   in Loop: Header=BB18_16 Depth=1
	s_or_b64 exec, exec, s[34:35]
	s_and_saveexec_b64 s[34:35], s[4:5]
	s_cbranch_execnz .LBB18_89
.LBB18_56:                              ;   in Loop: Header=BB18_16 Depth=1
	s_or_b64 exec, exec, s[34:35]
	s_and_saveexec_b64 s[34:35], s[6:7]
	s_cbranch_execnz .LBB18_90
.LBB18_57:                              ;   in Loop: Header=BB18_16 Depth=1
	s_or_b64 exec, exec, s[34:35]
	s_and_saveexec_b64 s[34:35], s[8:9]
	s_cbranch_execnz .LBB18_91
.LBB18_58:                              ;   in Loop: Header=BB18_16 Depth=1
	s_or_b64 exec, exec, s[34:35]
	s_and_saveexec_b64 s[34:35], s[10:11]
	s_cbranch_execnz .LBB18_92
.LBB18_59:                              ;   in Loop: Header=BB18_16 Depth=1
	s_or_b64 exec, exec, s[34:35]
	s_and_saveexec_b64 s[34:35], s[12:13]
	s_cbranch_execnz .LBB18_93
.LBB18_60:                              ;   in Loop: Header=BB18_16 Depth=1
	s_or_b64 exec, exec, s[34:35]
	s_and_saveexec_b64 s[34:35], s[14:15]
	s_cbranch_execnz .LBB18_94
.LBB18_61:                              ;   in Loop: Header=BB18_16 Depth=1
	s_or_b64 exec, exec, s[34:35]
	v_add_u32_e32 v58, s19, v58
	s_and_saveexec_b64 s[34:35], vcc
	s_cbranch_execnz .LBB18_95
.LBB18_62:                              ;   in Loop: Header=BB18_16 Depth=1
	s_or_b64 exec, exec, s[34:35]
	s_and_saveexec_b64 s[34:35], s[4:5]
	s_cbranch_execnz .LBB18_96
.LBB18_63:                              ;   in Loop: Header=BB18_16 Depth=1
	s_or_b64 exec, exec, s[34:35]
	s_and_saveexec_b64 s[34:35], s[6:7]
	s_cbranch_execnz .LBB18_97
.LBB18_64:                              ;   in Loop: Header=BB18_16 Depth=1
	s_or_b64 exec, exec, s[34:35]
	s_and_saveexec_b64 s[34:35], s[8:9]
	s_cbranch_execnz .LBB18_98
.LBB18_65:                              ;   in Loop: Header=BB18_16 Depth=1
	s_or_b64 exec, exec, s[34:35]
	s_and_saveexec_b64 s[34:35], s[10:11]
	s_cbranch_execnz .LBB18_99
.LBB18_66:                              ;   in Loop: Header=BB18_16 Depth=1
	s_or_b64 exec, exec, s[34:35]
	s_and_saveexec_b64 s[34:35], s[12:13]
	s_cbranch_execnz .LBB18_100
.LBB18_67:                              ;   in Loop: Header=BB18_16 Depth=1
	s_or_b64 exec, exec, s[34:35]
	s_and_saveexec_b64 s[34:35], s[14:15]
	s_cbranch_execnz .LBB18_101
.LBB18_68:                              ;   in Loop: Header=BB18_16 Depth=1
	s_or_b64 exec, exec, s[34:35]
	v_add_u32_e32 v58, s19, v58
	s_and_saveexec_b64 s[16:17], vcc
	s_cbranch_execnz .LBB18_102
.LBB18_69:                              ;   in Loop: Header=BB18_16 Depth=1
	s_or_b64 exec, exec, s[16:17]
	s_and_saveexec_b64 s[16:17], s[4:5]
	s_cbranch_execnz .LBB18_103
.LBB18_70:                              ;   in Loop: Header=BB18_16 Depth=1
	s_or_b64 exec, exec, s[16:17]
	s_and_saveexec_b64 s[4:5], s[6:7]
	s_cbranch_execnz .LBB18_104
.LBB18_71:                              ;   in Loop: Header=BB18_16 Depth=1
	s_or_b64 exec, exec, s[4:5]
	s_and_saveexec_b64 s[4:5], s[8:9]
	s_cbranch_execnz .LBB18_105
.LBB18_72:                              ;   in Loop: Header=BB18_16 Depth=1
	s_or_b64 exec, exec, s[4:5]
	s_and_saveexec_b64 s[4:5], s[10:11]
	s_cbranch_execnz .LBB18_106
.LBB18_73:                              ;   in Loop: Header=BB18_16 Depth=1
	s_or_b64 exec, exec, s[4:5]
	s_and_saveexec_b64 s[4:5], s[12:13]
	s_cbranch_execnz .LBB18_107
.LBB18_74:                              ;   in Loop: Header=BB18_16 Depth=1
	s_or_b64 exec, exec, s[4:5]
	s_and_b64 exec, exec, s[14:15]
	s_cbranch_execz .LBB18_76
.LBB18_75:                              ;   in Loop: Header=BB18_16 Depth=1
	v_cvt_f16_f32_e32 v55, v61
	v_add_u32_e32 v58, 6, v58
	v_lshlrev_b64 v[60:61], 1, v[58:59]
	s_waitcnt lgkmcnt(0)
	v_mov_b32_e32 v58, s25
	v_add_co_u32_e32 v60, vcc, s24, v60
	v_addc_co_u32_e32 v61, vcc, v58, v61, vcc
	global_store_short v[60:61], v55, off
.LBB18_76:                              ;   in Loop: Header=BB18_16 Depth=1
	s_or_b64 exec, exec, s[30:31]
	v_add_u32_e32 v54, s36, v54
	v_add_u32_e32 v55, 7, v54
	v_cmp_gt_u32_e32 vcc, s19, v54
	v_cmp_le_u32_e64 s[4:5], s19, v55
	s_and_b64 s[4:5], vcc, s[4:5]
	s_and_saveexec_b64 s[6:7], s[4:5]
	s_cbranch_execz .LBB18_15
; %bb.77:                               ;   in Loop: Header=BB18_16 Depth=1
	v_cmp_ne_u32_e32 vcc, s37, v54
	s_and_saveexec_b64 s[8:9], vcc
	s_cbranch_execz .LBB18_14
; %bb.78:                               ;   in Loop: Header=BB18_16 Depth=1
	v_subrev_u32_e32 v54, s37, v54
	v_cmp_lt_u32_e32 vcc, 1, v54
	v_cndmask_b32_e32 v54, 1, v54, vcc
	s_mov_b64 s[10:11], 0
	s_mov_b64 s[12:13], 0
.LBB18_79:                              ;   Parent Loop BB18_16 Depth=1
                                        ; =>  This Inner Loop Header: Depth=2
	s_cmp_lg_u32 s12, 6
	s_cselect_b64 vcc, -1, 0
	s_cmp_lg_u32 s12, 5
	v_cndmask_b32_e32 v8, 0, v8, vcc
	s_cselect_b64 vcc, -1, 0
	s_cmp_lg_u32 s12, 4
	v_cndmask_b32_e32 v7, 0, v7, vcc
	;; [unrolled: 3-line block ×6, first 2 shown]
	s_cselect_b64 vcc, -1, 0
	s_add_u32 s12, s12, 1
	s_addc_u32 s13, s13, 0
	v_cmp_eq_u32_e64 s[4:5], s12, v54
	s_or_b64 s[10:11], s[4:5], s[10:11]
	v_cndmask_b32_e32 v2, 0, v2, vcc
	s_andn2_b64 exec, exec, s[10:11]
	s_cbranch_execnz .LBB18_79
; %bb.80:                               ;   in Loop: Header=BB18_16 Depth=1
	s_or_b64 exec, exec, s[10:11]
	s_branch .LBB18_14
.LBB18_81:                              ;   in Loop: Header=BB18_16 Depth=1
	v_cvt_f16_f32_e32 v58, v55
	v_mov_b32_e32 v55, v59
	v_lshlrev_b64 v[62:63], 1, v[54:55]
	s_waitcnt lgkmcnt(0)
	v_mov_b32_e32 v55, s25
	v_add_co_u32_e64 v62, s[4:5], s24, v62
	v_addc_co_u32_e64 v63, s[4:5], v55, v63, s[4:5]
	global_store_short v[62:63], v58, off
	s_or_b64 exec, exec, s[6:7]
	v_cmp_ne_u32_e64 s[4:5], 0, v3
	s_and_saveexec_b64 s[8:9], s[4:5]
	s_cbranch_execz .LBB18_49
.LBB18_82:                              ;   in Loop: Header=BB18_16 Depth=1
	v_cvt_f16_f32_e32 v55, v89
	v_add_u32_e32 v58, 1, v54
	v_lshlrev_b64 v[62:63], 1, v[58:59]
	s_waitcnt lgkmcnt(0)
	v_mov_b32_e32 v58, s25
	v_add_co_u32_e64 v62, s[6:7], s24, v62
	v_addc_co_u32_e64 v63, s[6:7], v58, v63, s[6:7]
	global_store_short v[62:63], v55, off
	s_or_b64 exec, exec, s[8:9]
	v_cmp_ne_u32_e64 s[6:7], 0, v4
	s_and_saveexec_b64 s[10:11], s[6:7]
	s_cbranch_execz .LBB18_50
.LBB18_83:                              ;   in Loop: Header=BB18_16 Depth=1
	v_cvt_f16_f32_e32 v55, v88
	v_add_u32_e32 v58, 2, v54
	v_lshlrev_b64 v[62:63], 1, v[58:59]
	s_waitcnt lgkmcnt(0)
	v_mov_b32_e32 v58, s25
	v_add_co_u32_e64 v62, s[8:9], s24, v62
	v_addc_co_u32_e64 v63, s[8:9], v58, v63, s[8:9]
	global_store_short v[62:63], v55, off
	s_or_b64 exec, exec, s[10:11]
	v_cmp_ne_u32_e64 s[8:9], 0, v5
	s_and_saveexec_b64 s[12:13], s[8:9]
	s_cbranch_execz .LBB18_51
.LBB18_84:                              ;   in Loop: Header=BB18_16 Depth=1
	v_cvt_f16_f32_e32 v55, v87
	v_add_u32_e32 v58, 3, v54
	v_lshlrev_b64 v[62:63], 1, v[58:59]
	s_waitcnt lgkmcnt(0)
	v_mov_b32_e32 v58, s25
	v_add_co_u32_e64 v62, s[10:11], s24, v62
	v_addc_co_u32_e64 v63, s[10:11], v58, v63, s[10:11]
	global_store_short v[62:63], v55, off
	s_or_b64 exec, exec, s[12:13]
	v_cmp_ne_u32_e64 s[10:11], 0, v6
	s_and_saveexec_b64 s[14:15], s[10:11]
	s_cbranch_execz .LBB18_52
.LBB18_85:                              ;   in Loop: Header=BB18_16 Depth=1
	v_cvt_f16_f32_e32 v55, v86
	v_add_u32_e32 v58, 4, v54
	v_lshlrev_b64 v[62:63], 1, v[58:59]
	s_waitcnt lgkmcnt(0)
	v_mov_b32_e32 v58, s25
	v_add_co_u32_e64 v62, s[12:13], s24, v62
	v_addc_co_u32_e64 v63, s[12:13], v58, v63, s[12:13]
	global_store_short v[62:63], v55, off
	s_or_b64 exec, exec, s[14:15]
	v_cmp_ne_u32_e64 s[12:13], 0, v7
	s_and_saveexec_b64 s[16:17], s[12:13]
	s_cbranch_execz .LBB18_53
.LBB18_86:                              ;   in Loop: Header=BB18_16 Depth=1
	v_cvt_f16_f32_e32 v55, v85
	v_add_u32_e32 v58, 5, v54
	v_lshlrev_b64 v[62:63], 1, v[58:59]
	s_waitcnt lgkmcnt(0)
	v_mov_b32_e32 v58, s25
	v_add_co_u32_e64 v62, s[14:15], s24, v62
	v_addc_co_u32_e64 v63, s[14:15], v58, v63, s[14:15]
	global_store_short v[62:63], v55, off
	s_or_b64 exec, exec, s[16:17]
	v_cmp_ne_u32_e64 s[14:15], 0, v8
	s_and_saveexec_b64 s[34:35], s[14:15]
	s_cbranch_execz .LBB18_54
.LBB18_87:                              ;   in Loop: Header=BB18_16 Depth=1
	v_cvt_f16_f32_e32 v55, v84
	v_add_u32_e32 v58, 6, v54
	v_lshlrev_b64 v[62:63], 1, v[58:59]
	s_waitcnt lgkmcnt(0)
	v_mov_b32_e32 v58, s25
	v_add_co_u32_e64 v62, s[16:17], s24, v62
	v_addc_co_u32_e64 v63, s[16:17], v58, v63, s[16:17]
	global_store_short v[62:63], v55, off
	s_or_b64 exec, exec, s[34:35]
	v_add_u32_e32 v58, s19, v54
	s_and_saveexec_b64 s[34:35], vcc
	s_cbranch_execz .LBB18_55
.LBB18_88:                              ;   in Loop: Header=BB18_16 Depth=1
	v_cvt_f16_f32_e32 v55, v83
	v_lshlrev_b64 v[62:63], 1, v[58:59]
	s_waitcnt lgkmcnt(0)
	v_mov_b32_e32 v60, s25
	v_add_co_u32_e64 v62, s[16:17], s24, v62
	v_addc_co_u32_e64 v63, s[16:17], v60, v63, s[16:17]
	global_store_short v[62:63], v55, off
	s_or_b64 exec, exec, s[34:35]
	s_and_saveexec_b64 s[34:35], s[4:5]
	s_cbranch_execz .LBB18_56
.LBB18_89:                              ;   in Loop: Header=BB18_16 Depth=1
	v_cvt_f16_f32_e32 v55, v82
	v_add_u32_e32 v62, 1, v58
	v_mov_b32_e32 v63, v59
	v_lshlrev_b64 v[62:63], 1, v[62:63]
	s_waitcnt lgkmcnt(0)
	v_mov_b32_e32 v60, s25
	v_add_co_u32_e64 v62, s[16:17], s24, v62
	v_addc_co_u32_e64 v63, s[16:17], v60, v63, s[16:17]
	global_store_short v[62:63], v55, off
	s_or_b64 exec, exec, s[34:35]
	s_and_saveexec_b64 s[34:35], s[6:7]
	s_cbranch_execz .LBB18_57
.LBB18_90:                              ;   in Loop: Header=BB18_16 Depth=1
	v_cvt_f16_f32_e32 v55, v81
	v_add_u32_e32 v62, 2, v58
	v_mov_b32_e32 v63, v59
	v_lshlrev_b64 v[62:63], 1, v[62:63]
	s_waitcnt lgkmcnt(0)
	v_mov_b32_e32 v60, s25
	v_add_co_u32_e64 v62, s[16:17], s24, v62
	v_addc_co_u32_e64 v63, s[16:17], v60, v63, s[16:17]
	global_store_short v[62:63], v55, off
	s_or_b64 exec, exec, s[34:35]
	s_and_saveexec_b64 s[34:35], s[8:9]
	s_cbranch_execz .LBB18_58
.LBB18_91:                              ;   in Loop: Header=BB18_16 Depth=1
	v_cvt_f16_f32_e32 v55, v80
	v_add_u32_e32 v62, 3, v58
	v_mov_b32_e32 v63, v59
	v_lshlrev_b64 v[62:63], 1, v[62:63]
	s_waitcnt lgkmcnt(0)
	v_mov_b32_e32 v60, s25
	v_add_co_u32_e64 v62, s[16:17], s24, v62
	v_addc_co_u32_e64 v63, s[16:17], v60, v63, s[16:17]
	global_store_short v[62:63], v55, off
	s_or_b64 exec, exec, s[34:35]
	s_and_saveexec_b64 s[34:35], s[10:11]
	s_cbranch_execz .LBB18_59
.LBB18_92:                              ;   in Loop: Header=BB18_16 Depth=1
	v_cvt_f16_f32_e32 v55, v79
	v_add_u32_e32 v62, 4, v58
	v_mov_b32_e32 v63, v59
	v_lshlrev_b64 v[62:63], 1, v[62:63]
	s_waitcnt lgkmcnt(0)
	v_mov_b32_e32 v60, s25
	v_add_co_u32_e64 v62, s[16:17], s24, v62
	v_addc_co_u32_e64 v63, s[16:17], v60, v63, s[16:17]
	global_store_short v[62:63], v55, off
	s_or_b64 exec, exec, s[34:35]
	s_and_saveexec_b64 s[34:35], s[12:13]
	s_cbranch_execz .LBB18_60
.LBB18_93:                              ;   in Loop: Header=BB18_16 Depth=1
	v_cvt_f16_f32_e32 v55, v78
	v_add_u32_e32 v62, 5, v58
	v_mov_b32_e32 v63, v59
	v_lshlrev_b64 v[62:63], 1, v[62:63]
	s_waitcnt lgkmcnt(0)
	v_mov_b32_e32 v60, s25
	v_add_co_u32_e64 v62, s[16:17], s24, v62
	v_addc_co_u32_e64 v63, s[16:17], v60, v63, s[16:17]
	global_store_short v[62:63], v55, off
	s_or_b64 exec, exec, s[34:35]
	s_and_saveexec_b64 s[34:35], s[14:15]
	s_cbranch_execz .LBB18_61
.LBB18_94:                              ;   in Loop: Header=BB18_16 Depth=1
	v_cvt_f16_f32_e32 v55, v77
	v_add_u32_e32 v62, 6, v58
	v_mov_b32_e32 v63, v59
	v_lshlrev_b64 v[62:63], 1, v[62:63]
	s_waitcnt lgkmcnt(0)
	v_mov_b32_e32 v60, s25
	v_add_co_u32_e64 v62, s[16:17], s24, v62
	v_addc_co_u32_e64 v63, s[16:17], v60, v63, s[16:17]
	global_store_short v[62:63], v55, off
	s_or_b64 exec, exec, s[34:35]
	v_add_u32_e32 v58, s19, v58
	s_and_saveexec_b64 s[34:35], vcc
	s_cbranch_execz .LBB18_62
.LBB18_95:                              ;   in Loop: Header=BB18_16 Depth=1
	v_cvt_f16_f32_e32 v55, v76
	v_lshlrev_b64 v[62:63], 1, v[58:59]
	s_waitcnt lgkmcnt(0)
	v_mov_b32_e32 v60, s25
	v_add_co_u32_e64 v62, s[16:17], s24, v62
	v_addc_co_u32_e64 v63, s[16:17], v60, v63, s[16:17]
	global_store_short v[62:63], v55, off
	s_or_b64 exec, exec, s[34:35]
	s_and_saveexec_b64 s[34:35], s[4:5]
	s_cbranch_execz .LBB18_63
.LBB18_96:                              ;   in Loop: Header=BB18_16 Depth=1
	v_cvt_f16_f32_e32 v55, v75
	v_add_u32_e32 v62, 1, v58
	v_mov_b32_e32 v63, v59
	v_lshlrev_b64 v[62:63], 1, v[62:63]
	s_waitcnt lgkmcnt(0)
	v_mov_b32_e32 v60, s25
	v_add_co_u32_e64 v62, s[16:17], s24, v62
	v_addc_co_u32_e64 v63, s[16:17], v60, v63, s[16:17]
	global_store_short v[62:63], v55, off
	s_or_b64 exec, exec, s[34:35]
	s_and_saveexec_b64 s[34:35], s[6:7]
	s_cbranch_execz .LBB18_64
.LBB18_97:                              ;   in Loop: Header=BB18_16 Depth=1
	v_cvt_f16_f32_e32 v55, v74
	v_add_u32_e32 v62, 2, v58
	v_mov_b32_e32 v63, v59
	v_lshlrev_b64 v[62:63], 1, v[62:63]
	s_waitcnt lgkmcnt(0)
	v_mov_b32_e32 v60, s25
	v_add_co_u32_e64 v62, s[16:17], s24, v62
	v_addc_co_u32_e64 v63, s[16:17], v60, v63, s[16:17]
	global_store_short v[62:63], v55, off
	s_or_b64 exec, exec, s[34:35]
	s_and_saveexec_b64 s[34:35], s[8:9]
	s_cbranch_execz .LBB18_65
.LBB18_98:                              ;   in Loop: Header=BB18_16 Depth=1
	v_cvt_f16_f32_e32 v55, v73
	v_add_u32_e32 v62, 3, v58
	v_mov_b32_e32 v63, v59
	v_lshlrev_b64 v[62:63], 1, v[62:63]
	s_waitcnt lgkmcnt(0)
	v_mov_b32_e32 v60, s25
	v_add_co_u32_e64 v62, s[16:17], s24, v62
	v_addc_co_u32_e64 v63, s[16:17], v60, v63, s[16:17]
	global_store_short v[62:63], v55, off
	s_or_b64 exec, exec, s[34:35]
	s_and_saveexec_b64 s[34:35], s[10:11]
	s_cbranch_execz .LBB18_66
.LBB18_99:                              ;   in Loop: Header=BB18_16 Depth=1
	v_cvt_f16_f32_e32 v55, v72
	v_add_u32_e32 v62, 4, v58
	v_mov_b32_e32 v63, v59
	v_lshlrev_b64 v[62:63], 1, v[62:63]
	s_waitcnt lgkmcnt(0)
	v_mov_b32_e32 v60, s25
	v_add_co_u32_e64 v62, s[16:17], s24, v62
	v_addc_co_u32_e64 v63, s[16:17], v60, v63, s[16:17]
	global_store_short v[62:63], v55, off
	s_or_b64 exec, exec, s[34:35]
	s_and_saveexec_b64 s[34:35], s[12:13]
	s_cbranch_execz .LBB18_67
.LBB18_100:                             ;   in Loop: Header=BB18_16 Depth=1
	v_cvt_f16_f32_e32 v55, v71
	v_add_u32_e32 v62, 5, v58
	v_mov_b32_e32 v63, v59
	v_lshlrev_b64 v[62:63], 1, v[62:63]
	s_waitcnt lgkmcnt(0)
	v_mov_b32_e32 v60, s25
	v_add_co_u32_e64 v62, s[16:17], s24, v62
	v_addc_co_u32_e64 v63, s[16:17], v60, v63, s[16:17]
	global_store_short v[62:63], v55, off
	s_or_b64 exec, exec, s[34:35]
	s_and_saveexec_b64 s[34:35], s[14:15]
	s_cbranch_execz .LBB18_68
.LBB18_101:                             ;   in Loop: Header=BB18_16 Depth=1
	v_cvt_f16_f32_e32 v55, v70
	v_add_u32_e32 v62, 6, v58
	v_mov_b32_e32 v63, v59
	v_lshlrev_b64 v[62:63], 1, v[62:63]
	s_waitcnt lgkmcnt(0)
	v_mov_b32_e32 v60, s25
	v_add_co_u32_e64 v62, s[16:17], s24, v62
	v_addc_co_u32_e64 v63, s[16:17], v60, v63, s[16:17]
	global_store_short v[62:63], v55, off
	s_or_b64 exec, exec, s[34:35]
	v_add_u32_e32 v58, s19, v58
	s_and_saveexec_b64 s[16:17], vcc
	s_cbranch_execz .LBB18_69
.LBB18_102:                             ;   in Loop: Header=BB18_16 Depth=1
	v_cvt_f16_f32_e32 v55, v69
	v_lshlrev_b64 v[62:63], 1, v[58:59]
	s_waitcnt lgkmcnt(0)
	v_mov_b32_e32 v60, s25
	v_add_co_u32_e32 v62, vcc, s24, v62
	v_addc_co_u32_e32 v63, vcc, v60, v63, vcc
	global_store_short v[62:63], v55, off
	s_or_b64 exec, exec, s[16:17]
	s_and_saveexec_b64 s[16:17], s[4:5]
	s_cbranch_execz .LBB18_70
.LBB18_103:                             ;   in Loop: Header=BB18_16 Depth=1
	v_cvt_f16_f32_e32 v55, v68
	v_add_u32_e32 v62, 1, v58
	v_mov_b32_e32 v63, v59
	v_lshlrev_b64 v[62:63], 1, v[62:63]
	s_waitcnt lgkmcnt(0)
	v_mov_b32_e32 v60, s25
	v_add_co_u32_e32 v62, vcc, s24, v62
	v_addc_co_u32_e32 v63, vcc, v60, v63, vcc
	global_store_short v[62:63], v55, off
	s_or_b64 exec, exec, s[16:17]
	s_and_saveexec_b64 s[4:5], s[6:7]
	s_cbranch_execz .LBB18_71
.LBB18_104:                             ;   in Loop: Header=BB18_16 Depth=1
	v_cvt_f16_f32_e32 v55, v67
	v_add_u32_e32 v62, 2, v58
	v_mov_b32_e32 v63, v59
	v_lshlrev_b64 v[62:63], 1, v[62:63]
	s_waitcnt lgkmcnt(0)
	v_mov_b32_e32 v60, s25
	v_add_co_u32_e32 v62, vcc, s24, v62
	v_addc_co_u32_e32 v63, vcc, v60, v63, vcc
	global_store_short v[62:63], v55, off
	s_or_b64 exec, exec, s[4:5]
	s_and_saveexec_b64 s[4:5], s[8:9]
	s_cbranch_execz .LBB18_72
.LBB18_105:                             ;   in Loop: Header=BB18_16 Depth=1
	v_cvt_f16_f32_e32 v55, v66
	v_add_u32_e32 v62, 3, v58
	v_mov_b32_e32 v63, v59
	v_lshlrev_b64 v[62:63], 1, v[62:63]
	s_waitcnt lgkmcnt(0)
	v_mov_b32_e32 v60, s25
	v_add_co_u32_e32 v62, vcc, s24, v62
	v_addc_co_u32_e32 v63, vcc, v60, v63, vcc
	global_store_short v[62:63], v55, off
	s_or_b64 exec, exec, s[4:5]
	s_and_saveexec_b64 s[4:5], s[10:11]
	s_cbranch_execz .LBB18_73
.LBB18_106:                             ;   in Loop: Header=BB18_16 Depth=1
	v_cvt_f16_f32_e32 v55, v65
	v_add_u32_e32 v62, 4, v58
	v_mov_b32_e32 v63, v59
	v_lshlrev_b64 v[62:63], 1, v[62:63]
	s_waitcnt lgkmcnt(0)
	v_mov_b32_e32 v60, s25
	v_add_co_u32_e32 v62, vcc, s24, v62
	v_addc_co_u32_e32 v63, vcc, v60, v63, vcc
	global_store_short v[62:63], v55, off
	s_or_b64 exec, exec, s[4:5]
	s_and_saveexec_b64 s[4:5], s[12:13]
	s_cbranch_execz .LBB18_74
.LBB18_107:                             ;   in Loop: Header=BB18_16 Depth=1
	v_cvt_f16_f32_e32 v55, v64
	v_add_u32_e32 v62, 5, v58
	v_mov_b32_e32 v63, v59
	v_lshlrev_b64 v[62:63], 1, v[62:63]
	s_waitcnt lgkmcnt(0)
	v_mov_b32_e32 v60, s25
	v_add_co_u32_e32 v62, vcc, s24, v62
	v_addc_co_u32_e32 v63, vcc, v60, v63, vcc
	global_store_short v[62:63], v55, off
	s_or_b64 exec, exec, s[4:5]
	s_and_b64 exec, exec, s[14:15]
	s_cbranch_execnz .LBB18_75
	s_branch .LBB18_76
.LBB18_108:
	s_endpgm
	.section	.rodata,"a",@progbits
	.p2align	6, 0x0
	.amdhsa_kernel _Z12wvSplitK_hf_I6__halfLi64ELi7ELi16ELi8ELi1ELi4EEviiPKT_S3_PS1_ii
		.amdhsa_group_segment_fixed_size 65536
		.amdhsa_private_segment_fixed_size 0
		.amdhsa_kernarg_size 40
		.amdhsa_user_sgpr_count 6
		.amdhsa_user_sgpr_private_segment_buffer 1
		.amdhsa_user_sgpr_dispatch_ptr 0
		.amdhsa_user_sgpr_queue_ptr 0
		.amdhsa_user_sgpr_kernarg_segment_ptr 1
		.amdhsa_user_sgpr_dispatch_id 0
		.amdhsa_user_sgpr_flat_scratch_init 0
		.amdhsa_user_sgpr_kernarg_preload_length 0
		.amdhsa_user_sgpr_kernarg_preload_offset 0
		.amdhsa_user_sgpr_private_segment_size 0
		.amdhsa_uses_dynamic_stack 0
		.amdhsa_system_sgpr_private_segment_wavefront_offset 0
		.amdhsa_system_sgpr_workgroup_id_x 1
		.amdhsa_system_sgpr_workgroup_id_y 0
		.amdhsa_system_sgpr_workgroup_id_z 0
		.amdhsa_system_sgpr_workgroup_info 0
		.amdhsa_system_vgpr_workitem_id 1
		.amdhsa_next_free_vgpr 91
		.amdhsa_next_free_sgpr 41
		.amdhsa_accum_offset 92
		.amdhsa_reserve_vcc 1
		.amdhsa_reserve_flat_scratch 0
		.amdhsa_float_round_mode_32 0
		.amdhsa_float_round_mode_16_64 0
		.amdhsa_float_denorm_mode_32 3
		.amdhsa_float_denorm_mode_16_64 3
		.amdhsa_dx10_clamp 1
		.amdhsa_ieee_mode 1
		.amdhsa_fp16_overflow 0
		.amdhsa_tg_split 0
		.amdhsa_exception_fp_ieee_invalid_op 0
		.amdhsa_exception_fp_denorm_src 0
		.amdhsa_exception_fp_ieee_div_zero 0
		.amdhsa_exception_fp_ieee_overflow 0
		.amdhsa_exception_fp_ieee_underflow 0
		.amdhsa_exception_fp_ieee_inexact 0
		.amdhsa_exception_int_div_zero 0
	.end_amdhsa_kernel
	.section	.text._Z12wvSplitK_hf_I6__halfLi64ELi7ELi16ELi8ELi1ELi4EEviiPKT_S3_PS1_ii,"axG",@progbits,_Z12wvSplitK_hf_I6__halfLi64ELi7ELi16ELi8ELi1ELi4EEviiPKT_S3_PS1_ii,comdat
.Lfunc_end18:
	.size	_Z12wvSplitK_hf_I6__halfLi64ELi7ELi16ELi8ELi1ELi4EEviiPKT_S3_PS1_ii, .Lfunc_end18-_Z12wvSplitK_hf_I6__halfLi64ELi7ELi16ELi8ELi1ELi4EEviiPKT_S3_PS1_ii
                                        ; -- End function
	.section	.AMDGPU.csdata,"",@progbits
; Kernel info:
; codeLenInByte = 7604
; NumSgprs: 45
; NumVgprs: 91
; NumAgprs: 0
; TotalNumVgprs: 91
; ScratchSize: 0
; MemoryBound: 1
; FloatMode: 240
; IeeeMode: 1
; LDSByteSize: 65536 bytes/workgroup (compile time only)
; SGPRBlocks: 5
; VGPRBlocks: 11
; NumSGPRsForWavesPerEU: 45
; NumVGPRsForWavesPerEU: 91
; AccumOffset: 92
; Occupancy: 4
; WaveLimiterHint : 0
; COMPUTE_PGM_RSRC2:SCRATCH_EN: 0
; COMPUTE_PGM_RSRC2:USER_SGPR: 6
; COMPUTE_PGM_RSRC2:TRAP_HANDLER: 0
; COMPUTE_PGM_RSRC2:TGID_X_EN: 1
; COMPUTE_PGM_RSRC2:TGID_Y_EN: 0
; COMPUTE_PGM_RSRC2:TGID_Z_EN: 0
; COMPUTE_PGM_RSRC2:TIDIG_COMP_CNT: 1
; COMPUTE_PGM_RSRC3_GFX90A:ACCUM_OFFSET: 22
; COMPUTE_PGM_RSRC3_GFX90A:TG_SPLIT: 0
	.section	.text._Z16wvSplitK_hf_big_I6__halfLi64ELi7ELi16ELi8ELi1ELi4EEviiPKT_S3_PS1_ii,"axG",@progbits,_Z16wvSplitK_hf_big_I6__halfLi64ELi7ELi16ELi8ELi1ELi4EEviiPKT_S3_PS1_ii,comdat
	.protected	_Z16wvSplitK_hf_big_I6__halfLi64ELi7ELi16ELi8ELi1ELi4EEviiPKT_S3_PS1_ii ; -- Begin function _Z16wvSplitK_hf_big_I6__halfLi64ELi7ELi16ELi8ELi1ELi4EEviiPKT_S3_PS1_ii
	.globl	_Z16wvSplitK_hf_big_I6__halfLi64ELi7ELi16ELi8ELi1ELi4EEviiPKT_S3_PS1_ii
	.p2align	8
	.type	_Z16wvSplitK_hf_big_I6__halfLi64ELi7ELi16ELi8ELi1ELi4EEviiPKT_S3_PS1_ii,@function
_Z16wvSplitK_hf_big_I6__halfLi64ELi7ELi16ELi8ELi1ELi4EEviiPKT_S3_PS1_ii: ; @_Z16wvSplitK_hf_big_I6__halfLi64ELi7ELi16ELi8ELi1ELi4EEviiPKT_S3_PS1_ii
; %bb.0:
	s_load_dwordx2 s[2:3], s[4:5], 0x20
	v_bfe_u32 v11, v0, 10, 10
	s_waitcnt lgkmcnt(0)
	v_cmp_gt_u32_e32 vcc, s2, v11
	s_and_saveexec_b64 s[0:1], vcc
	s_cbranch_execz .LBB19_92
; %bb.1:
	s_load_dwordx2 s[24:25], s[4:5], 0x0
	s_mul_i32 s6, s6, s2
	v_add_u32_e32 v1, s6, v11
	v_mul_lo_u32 v54, v1, 7
	v_add_u32_e32 v1, 7, v54
	s_mov_b32 s8, 1
	s_waitcnt lgkmcnt(0)
	v_cmp_gt_u32_e32 vcc, s25, v54
	v_cmp_le_u32_e64 s[0:1], s25, v1
	s_mov_b32 s9, s8
	s_mov_b32 s10, s8
	;; [unrolled: 1-line block ×6, first 2 shown]
	v_mov_b32_e32 v2, s8
	s_and_b64 s[6:7], vcc, s[0:1]
	v_mov_b32_e32 v3, s9
	v_mov_b32_e32 v4, s10
	v_mov_b32_e32 v5, s11
	v_mov_b32_e32 v6, s12
	v_mov_b32_e32 v7, s13
	v_mov_b32_e32 v8, s14
	s_and_saveexec_b64 s[0:1], s[6:7]
	s_cbranch_execz .LBB19_7
; %bb.2:
	s_add_i32 s15, s25, -7
	v_mov_b32_e32 v2, s8
	v_cmp_ne_u32_e32 vcc, s15, v54
	v_mov_b32_e32 v3, s9
	v_mov_b32_e32 v4, s10
	;; [unrolled: 1-line block ×6, first 2 shown]
	s_and_saveexec_b64 s[6:7], vcc
	s_cbranch_execz .LBB19_6
; %bb.3:
	v_subrev_u32_e32 v1, s15, v54
	v_cmp_lt_u32_e32 vcc, 1, v1
	v_cndmask_b32_e32 v10, 1, v1, vcc
	s_mov_b64 s[16:17], 0
	s_mov_b64 s[18:19], 0
	s_mov_b32 s9, s8
	s_mov_b32 s10, s8
	;; [unrolled: 1-line block ×6, first 2 shown]
.LBB19_4:                               ; =>This Inner Loop Header: Depth=1
	s_cmp_lg_u32 s18, 6
	s_cselect_b32 s14, s14, 0
	s_cmp_lg_u32 s18, 5
	s_cselect_b32 s13, s13, 0
	;; [unrolled: 2-line block ×7, first 2 shown]
	s_add_u32 s18, s18, 1
	s_addc_u32 s19, s19, 0
	v_cmp_eq_u32_e32 vcc, s18, v10
	v_mov_b32_e32 v2, s8
	s_or_b64 s[16:17], vcc, s[16:17]
	v_mov_b32_e32 v3, s9
	v_mov_b32_e32 v4, s10
	;; [unrolled: 1-line block ×6, first 2 shown]
	s_andn2_b64 exec, exec, s[16:17]
	s_cbranch_execnz .LBB19_4
; %bb.5:
	s_or_b64 exec, exec, s[16:17]
	v_mov_b32_e32 v54, s15
.LBB19_6:
	s_or_b64 exec, exec, s[6:7]
.LBB19_7:
	s_or_b64 exec, exec, s[0:1]
	s_mul_i32 s42, s2, 7
	s_abs_i32 s0, s42
	v_cvt_f32_u32_e32 v1, s0
	s_sub_i32 s7, 0, s0
	s_abs_i32 s6, s25
	s_ashr_i32 s1, s25, 31
	v_rcp_iflag_f32_e32 v1, v1
	v_mul_f32_e32 v1, 0x4f7ffffe, v1
	v_cvt_u32_f32_e32 v1, v1
	v_readfirstlane_b32 s8, v1
	s_mul_i32 s7, s7, s8
	s_mul_hi_u32 s7, s8, s7
	s_add_i32 s8, s8, s7
	s_mul_hi_u32 s7, s6, s8
	s_mul_i32 s7, s7, s0
	s_sub_i32 s6, s6, s7
	s_sub_i32 s7, s6, s0
	s_cmp_ge_u32 s6, s0
	s_cselect_b32 s6, s7, s6
	s_sub_i32 s7, s6, s0
	s_cmp_ge_u32 s6, s0
	s_cselect_b32 s0, s7, s6
	s_xor_b32 s0, s0, s1
	s_sub_i32 s0, s0, s1
	s_add_i32 s1, s42, s25
	s_sub_i32 s1, s1, s0
	s_cmp_eq_u32 s0, 0
	s_cselect_b32 s33, s25, s1
	v_cmp_gt_u32_e32 vcc, s33, v54
	s_and_b64 exec, exec, vcc
	s_cbranch_execz .LBB19_92
; %bb.8:
	s_load_dwordx4 s[20:23], s[4:5], 0x8
	s_load_dwordx2 s[26:27], s[4:5], 0x18
	s_mov_b32 s0, 0
	v_cvt_f64_i32_e32 v[12:13], s24
	s_mov_b32 s1, 0x40c00000
	s_cmp_lg_u32 s24, 0
	v_min_f64 v[12:13], v[12:13], s[0:1]
	v_and_b32_e32 v0, 0x3ff, v0
	s_cselect_b64 s[4:5], -1, 0
	s_ashr_i32 s7, s24, 31
	s_mov_b32 s6, s24
	v_cvt_u32_f64_e32 v10, v[12:13]
	v_lshlrev_b32_e32 v1, 3, v0
	s_lshl_b32 s41, s2, 9
	v_cmp_eq_u32_e64 s[0:1], 63, v0
	s_add_i32 s43, s25, -7
	s_lshl_b64 s[28:29], s[6:7], 1
	v_lshlrev_b32_e32 v0, 4, v0
	s_waitcnt lgkmcnt(0)
	s_add_u32 s44, s26, 2
	v_lshl_add_u32 v60, v11, 10, v0
	v_lshl_add_u32 v0, v11, 9, v1
	v_cmp_ne_u32_e32 vcc, 0, v10
	v_readfirstlane_b32 s40, v10
	s_mul_i32 s42, s42, s3
	s_addc_u32 s45, s27, 0
	v_mul_lo_u32 v9, v10, 6
	s_lshl_b32 s46, s2, 10
	v_lshlrev_b32_e32 v61, 2, v10
	v_lshlrev_b32_e32 v62, 1, v10
	v_mad_u64_u32 v[56:57], s[2:3], s24, 3, v[0:1]
	v_cndmask_b32_e64 v11, 0, 1, s[4:5]
	v_cndmask_b32_e64 v10, 0, 1, vcc
	v_lshl_add_u32 v63, s24, 1, v0
	v_add_u32_e32 v57, s24, v0
	s_mov_b64 s[30:31], 0
	v_cmp_ne_u32_e64 s[2:3], 1, v11
	v_cmp_ne_u32_e64 s[4:5], 1, v10
	v_mov_b32_e32 v59, 0
	s_lshl_b32 s47, s40, 1
	s_branch .LBB19_12
.LBB19_9:                               ;   in Loop: Header=BB19_12 Depth=1
	s_or_b64 exec, exec, s[10:11]
	v_mov_b32_e32 v54, s43
.LBB19_10:                              ;   in Loop: Header=BB19_12 Depth=1
	s_or_b64 exec, exec, s[8:9]
.LBB19_11:                              ;   in Loop: Header=BB19_12 Depth=1
	s_or_b64 exec, exec, s[34:35]
	v_cmp_le_u32_e32 vcc, s33, v54
	s_or_b64 s[30:31], vcc, s[30:31]
	s_andn2_b64 exec, exec, s[30:31]
	s_cbranch_execz .LBB19_92
.LBB19_12:                              ; =>This Loop Header: Depth=1
                                        ;     Child Loop BB19_16 Depth 2
                                        ;       Child Loop BB19_21 Depth 3
                                        ;     Child Loop BB19_63 Depth 2
	s_mov_b32 s14, 0
	s_and_b64 vcc, exec, s[2:3]
	v_mov_b32_e32 v64, v59
	v_mov_b32_e32 v65, v59
	;; [unrolled: 1-line block ×28, first 2 shown]
	s_cbranch_vccnz .LBB19_27
; %bb.13:                               ;   in Loop: Header=BB19_12 Depth=1
	v_cmp_gt_u32_e64 s[6:7], s25, v54
	v_mul_lo_u32 v91, v54, s24
	v_mov_b32_e32 v87, 0
	v_mov_b32_e32 v88, 0
	;; [unrolled: 1-line block ×28, first 2 shown]
	s_mov_b32 s15, 0
	s_branch .LBB19_16
.LBB19_14:                              ;   in Loop: Header=BB19_16 Depth=2
	s_or_b64 exec, exec, s[10:11]
.LBB19_15:                              ;   in Loop: Header=BB19_16 Depth=2
	s_or_b64 exec, exec, s[8:9]
	s_addk_i32 s15, 0x200
	s_cmp_ge_u32 s15, s24
	s_cbranch_scc1 .LBB19_27
.LBB19_16:                              ;   Parent Loop BB19_12 Depth=1
                                        ; =>  This Loop Header: Depth=2
                                        ;       Child Loop BB19_21 Depth 3
	s_cmp_eq_u32 s15, 0
	s_cselect_b64 s[8:9], -1, 0
	s_add_i32 s10, s14, s40
	s_cmp_eq_u32 s15, s10
	s_cselect_b64 s[12:13], -1, 0
	s_or_b64 s[12:13], s[8:9], s[12:13]
	s_andn2_b64 vcc, exec, s[12:13]
	s_cbranch_vccz .LBB19_18
; %bb.17:                               ;   in Loop: Header=BB19_16 Depth=2
	s_and_saveexec_b64 s[8:9], s[6:7]
	s_cbranch_execz .LBB19_15
	s_branch .LBB19_25
.LBB19_18:                              ;   in Loop: Header=BB19_16 Depth=2
	s_and_b64 s[8:9], s[8:9], exec
	s_cselect_b32 s14, s14, s10
	s_and_b64 vcc, exec, s[4:5]
	s_barrier
	s_cbranch_vccnz .LBB19_24
; %bb.19:                               ;   in Loop: Header=BB19_16 Depth=2
	v_add_u32_e32 v10, s14, v63
	v_add_u32_e32 v11, s14, v56
	;; [unrolled: 1-line block ×4, first 2 shown]
	s_mov_b32 s16, 0
	s_mov_b64 s[10:11], 0
	v_mov_b32_e32 v14, v60
                                        ; implicit-def: $sgpr12_sgpr13
	s_branch .LBB19_21
.LBB19_20:                              ;   in Loop: Header=BB19_21 Depth=3
	s_or_b64 exec, exec, s[8:9]
	s_and_b64 s[8:9], exec, s[12:13]
	s_or_b64 s[10:11], s[8:9], s[10:11]
	s_andn2_b64 exec, exec, s[10:11]
	s_cbranch_execz .LBB19_23
.LBB19_21:                              ;   Parent Loop BB19_12 Depth=1
                                        ;     Parent Loop BB19_16 Depth=2
                                        ; =>    This Inner Loop Header: Depth=3
	v_add_u32_e32 v15, s16, v0
	v_add_u32_e32 v58, s16, v13
	v_cmp_gt_u32_e32 vcc, s24, v58
	v_cmp_gt_u32_e64 s[8:9], s40, v15
	s_and_b64 s[18:19], vcc, s[8:9]
	s_or_b64 s[12:13], s[12:13], exec
	s_and_saveexec_b64 s[8:9], s[18:19]
	s_cbranch_execz .LBB19_20
; %bb.22:                               ;   in Loop: Header=BB19_21 Depth=3
	v_lshlrev_b64 v[16:17], 1, v[58:59]
	v_mov_b32_e32 v15, s23
	v_add_co_u32_e32 v16, vcc, s22, v16
	v_add_u32_e32 v58, s16, v12
	v_addc_co_u32_e32 v17, vcc, v15, v17, vcc
	v_lshlrev_b64 v[18:19], 1, v[58:59]
	v_add_co_u32_e32 v20, vcc, s22, v18
	v_add_u32_e32 v58, s16, v10
	v_addc_co_u32_e32 v21, vcc, v15, v19, vcc
	v_lshlrev_b64 v[24:25], 1, v[58:59]
	v_add_co_u32_e32 v24, vcc, s22, v24
	v_add_u32_e32 v58, s16, v11
	global_load_dwordx4 v[16:19], v[16:17], off
	s_nop 0
	global_load_dwordx4 v[20:23], v[20:21], off
	v_addc_co_u32_e32 v25, vcc, v15, v25, vcc
	v_lshlrev_b64 v[28:29], 1, v[58:59]
	global_load_dwordx4 v[24:27], v[24:25], off
	v_add_co_u32_e32 v28, vcc, s22, v28
	v_addc_co_u32_e32 v29, vcc, v15, v29, vcc
	global_load_dwordx4 v[28:31], v[28:29], off
	s_add_i32 s16, s16, s41
	s_cmp_ge_u32 s16, s40
	s_cselect_b64 s[18:19], -1, 0
	s_andn2_b64 s[12:13], s[12:13], exec
	s_and_b64 s[18:19], s[18:19], exec
	v_add_u32_e32 v15, v14, v62
	v_add_u32_e32 v32, v14, v61
	;; [unrolled: 1-line block ×3, first 2 shown]
	s_or_b64 s[12:13], s[12:13], s[18:19]
	s_waitcnt vmcnt(3)
	ds_write_b128 v14, v[16:19]
	v_add_u32_e32 v14, s46, v14
	s_waitcnt vmcnt(2)
	ds_write2_b64 v15, v[20:21], v[22:23] offset1:1
	s_waitcnt vmcnt(1)
	ds_write2_b32 v32, v24, v25 offset1:1
	ds_write2_b32 v32, v26, v27 offset0:2 offset1:3
	s_waitcnt vmcnt(0)
	ds_write2_b64 v33, v[28:29], v[30:31] offset1:1
	s_branch .LBB19_20
.LBB19_23:                              ;   in Loop: Header=BB19_16 Depth=2
	s_or_b64 exec, exec, s[10:11]
.LBB19_24:                              ;   in Loop: Header=BB19_16 Depth=2
	s_waitcnt lgkmcnt(0)
	s_barrier
	s_and_saveexec_b64 s[8:9], s[6:7]
	s_cbranch_execz .LBB19_15
.LBB19_25:                              ;   in Loop: Header=BB19_16 Depth=2
	v_add_u32_e32 v22, s15, v1
	v_cmp_gt_u32_e32 vcc, s24, v22
	s_and_saveexec_b64 s[10:11], vcc
	s_cbranch_execz .LBB19_14
; %bb.26:                               ;   in Loop: Header=BB19_16 Depth=2
	v_add_u32_e32 v58, v22, v91
	v_lshlrev_b64 v[10:11], 1, v[58:59]
	v_mov_b32_e32 v12, s21
	v_add_co_u32_e32 v10, vcc, s20, v10
	v_addc_co_u32_e32 v11, vcc, v12, v11, vcc
	global_load_dwordx4 v[38:41], v[10:11], off glc slc
	v_mov_b32_e32 v12, s29
	v_add_co_u32_e32 v10, vcc, s28, v10
	v_addc_co_u32_e32 v11, vcc, v11, v12, vcc
	global_load_dwordx4 v[34:37], v[10:11], off glc slc
	v_add_co_u32_e32 v10, vcc, s28, v10
	v_addc_co_u32_e32 v11, vcc, v11, v12, vcc
	global_load_dwordx4 v[30:33], v[10:11], off glc slc
	;; [unrolled: 3-line block ×4, first 2 shown]
	v_add_co_u32_e32 v10, vcc, s28, v10
	v_addc_co_u32_e32 v11, vcc, v11, v12, vcc
	v_subrev_u32_e32 v22, s14, v22
	global_load_dwordx4 v[14:17], v[10:11], off glc slc
	v_add_co_u32_e32 v10, vcc, s28, v10
	v_lshlrev_b32_e32 v22, 1, v22
	v_addc_co_u32_e32 v11, vcc, v11, v12, vcc
	v_add_u32_e32 v23, s47, v22
	global_load_dwordx4 v[10:13], v[10:11], off glc slc
	ds_read_b128 v[50:53], v22
	ds_read_b128 v[46:49], v23
	v_add_u32_e32 v22, s47, v23
	v_add_u32_e32 v23, s47, v22
	ds_read_b128 v[42:45], v22
	ds_read_b128 v[22:25], v23
	s_waitcnt vmcnt(6) lgkmcnt(3)
	;;#ASMSTART
	v_dot2c_f32_f16 v55, v50, v38
	;;#ASMEND
	s_waitcnt lgkmcnt(2)
	;;#ASMSTART
	v_dot2c_f32_f16 v84, v46, v38
	;;#ASMEND
	s_waitcnt vmcnt(5)
	;;#ASMSTART
	v_dot2c_f32_f16 v90, v50, v34
	;;#ASMEND
	;;#ASMSTART
	v_dot2c_f32_f16 v83, v46, v34
	;;#ASMEND
	s_waitcnt vmcnt(4)
	;;#ASMSTART
	v_dot2c_f32_f16 v89, v50, v30
	;;#ASMEND
	;; [unrolled: 7-line block ×5, first 2 shown]
	s_waitcnt vmcnt(0)
	;;#ASMSTART
	v_dot2c_f32_f16 v85, v50, v10
	;;#ASMEND
	;;#ASMSTART
	v_dot2c_f32_f16 v79, v46, v14
	;;#ASMEND
	;;#ASMSTART
	v_dot2c_f32_f16 v78, v46, v10
	;;#ASMEND
	s_waitcnt lgkmcnt(1)
	;;#ASMSTART
	v_dot2c_f32_f16 v77, v42, v38
	;;#ASMEND
	;;#ASMSTART
	v_dot2c_f32_f16 v76, v42, v34
	;;#ASMEND
	;; [unrolled: 3-line block ×7, first 2 shown]
	s_waitcnt lgkmcnt(0)
	;;#ASMSTART
	v_dot2c_f32_f16 v70, v22, v38
	;;#ASMEND
	;;#ASMSTART
	v_dot2c_f32_f16 v69, v22, v34
	;;#ASMEND
	;;#ASMSTART
	v_dot2c_f32_f16 v68, v22, v30
	;;#ASMEND
	;;#ASMSTART
	v_dot2c_f32_f16 v67, v22, v26
	;;#ASMEND
	;;#ASMSTART
	v_dot2c_f32_f16 v66, v22, v18
	;;#ASMEND
	;;#ASMSTART
	v_dot2c_f32_f16 v65, v22, v14
	;;#ASMEND
	;;#ASMSTART
	v_dot2c_f32_f16 v64, v22, v10
	;;#ASMEND
	;;#ASMSTART
	v_dot2c_f32_f16 v55, v51, v39
	;;#ASMEND
	;;#ASMSTART
	v_dot2c_f32_f16 v84, v47, v39
	;;#ASMEND
	;;#ASMSTART
	v_dot2c_f32_f16 v90, v51, v35
	;;#ASMEND
	;;#ASMSTART
	v_dot2c_f32_f16 v83, v47, v35
	;;#ASMEND
	;;#ASMSTART
	v_dot2c_f32_f16 v89, v51, v31
	;;#ASMEND
	;;#ASMSTART
	v_dot2c_f32_f16 v82, v47, v31
	;;#ASMEND
	;;#ASMSTART
	v_dot2c_f32_f16 v88, v51, v27
	;;#ASMEND
	;;#ASMSTART
	v_dot2c_f32_f16 v81, v47, v27
	;;#ASMEND
	;;#ASMSTART
	v_dot2c_f32_f16 v87, v51, v19
	;;#ASMEND
	;;#ASMSTART
	v_dot2c_f32_f16 v86, v51, v15
	;;#ASMEND
	;;#ASMSTART
	v_dot2c_f32_f16 v85, v51, v11
	;;#ASMEND
	;;#ASMSTART
	v_dot2c_f32_f16 v80, v47, v19
	;;#ASMEND
	;;#ASMSTART
	v_dot2c_f32_f16 v79, v47, v15
	;;#ASMEND
	;;#ASMSTART
	v_dot2c_f32_f16 v78, v47, v11
	;;#ASMEND
	;;#ASMSTART
	v_dot2c_f32_f16 v77, v43, v39
	;;#ASMEND
	;;#ASMSTART
	v_dot2c_f32_f16 v76, v43, v35
	;;#ASMEND
	;;#ASMSTART
	v_dot2c_f32_f16 v75, v43, v31
	;;#ASMEND
	;;#ASMSTART
	v_dot2c_f32_f16 v74, v43, v27
	;;#ASMEND
	;;#ASMSTART
	v_dot2c_f32_f16 v73, v43, v19
	;;#ASMEND
	;;#ASMSTART
	v_dot2c_f32_f16 v72, v43, v15
	;;#ASMEND
	;;#ASMSTART
	v_dot2c_f32_f16 v71, v43, v11
	;;#ASMEND
	;;#ASMSTART
	v_dot2c_f32_f16 v70, v23, v39
	;;#ASMEND
	;;#ASMSTART
	v_dot2c_f32_f16 v69, v23, v35
	;;#ASMEND
	;;#ASMSTART
	v_dot2c_f32_f16 v68, v23, v31
	;;#ASMEND
	;;#ASMSTART
	v_dot2c_f32_f16 v67, v23, v27
	;;#ASMEND
	;;#ASMSTART
	v_dot2c_f32_f16 v66, v23, v19
	;;#ASMEND
	;;#ASMSTART
	v_dot2c_f32_f16 v65, v23, v15
	;;#ASMEND
	;;#ASMSTART
	v_dot2c_f32_f16 v64, v23, v11
	;;#ASMEND
	;;#ASMSTART
	v_dot2c_f32_f16 v55, v52, v40
	;;#ASMEND
	;;#ASMSTART
	v_dot2c_f32_f16 v84, v48, v40
	;;#ASMEND
	;;#ASMSTART
	v_dot2c_f32_f16 v90, v52, v36
	;;#ASMEND
	;;#ASMSTART
	v_dot2c_f32_f16 v83, v48, v36
	;;#ASMEND
	;;#ASMSTART
	v_dot2c_f32_f16 v89, v52, v32
	;;#ASMEND
	;;#ASMSTART
	v_dot2c_f32_f16 v82, v48, v32
	;;#ASMEND
	;;#ASMSTART
	v_dot2c_f32_f16 v88, v52, v28
	;;#ASMEND
	;;#ASMSTART
	v_dot2c_f32_f16 v81, v48, v28
	;;#ASMEND
	;;#ASMSTART
	v_dot2c_f32_f16 v87, v52, v20
	;;#ASMEND
	;;#ASMSTART
	v_dot2c_f32_f16 v86, v52, v16
	;;#ASMEND
	;;#ASMSTART
	v_dot2c_f32_f16 v85, v52, v12
	;;#ASMEND
	;;#ASMSTART
	v_dot2c_f32_f16 v80, v48, v20
	;;#ASMEND
	;;#ASMSTART
	v_dot2c_f32_f16 v79, v48, v16
	;;#ASMEND
	;;#ASMSTART
	v_dot2c_f32_f16 v78, v48, v12
	;;#ASMEND
	;;#ASMSTART
	v_dot2c_f32_f16 v77, v44, v40
	;;#ASMEND
	;;#ASMSTART
	v_dot2c_f32_f16 v76, v44, v36
	;;#ASMEND
	;;#ASMSTART
	v_dot2c_f32_f16 v75, v44, v32
	;;#ASMEND
	;;#ASMSTART
	v_dot2c_f32_f16 v74, v44, v28
	;;#ASMEND
	;;#ASMSTART
	v_dot2c_f32_f16 v73, v44, v20
	;;#ASMEND
	;;#ASMSTART
	v_dot2c_f32_f16 v72, v44, v16
	;;#ASMEND
	;;#ASMSTART
	v_dot2c_f32_f16 v71, v44, v12
	;;#ASMEND
	;;#ASMSTART
	v_dot2c_f32_f16 v70, v24, v40
	;;#ASMEND
	;;#ASMSTART
	v_dot2c_f32_f16 v69, v24, v36
	;;#ASMEND
	;;#ASMSTART
	v_dot2c_f32_f16 v68, v24, v32
	;;#ASMEND
	;;#ASMSTART
	v_dot2c_f32_f16 v67, v24, v28
	;;#ASMEND
	;;#ASMSTART
	v_dot2c_f32_f16 v66, v24, v20
	;;#ASMEND
	;;#ASMSTART
	v_dot2c_f32_f16 v65, v24, v16
	;;#ASMEND
	;;#ASMSTART
	v_dot2c_f32_f16 v64, v24, v12
	;;#ASMEND
	;;#ASMSTART
	v_dot2c_f32_f16 v55, v53, v41
	;;#ASMEND
	;;#ASMSTART
	v_dot2c_f32_f16 v84, v49, v41
	;;#ASMEND
	;;#ASMSTART
	v_dot2c_f32_f16 v90, v53, v37
	;;#ASMEND
	;;#ASMSTART
	v_dot2c_f32_f16 v83, v49, v37
	;;#ASMEND
	;;#ASMSTART
	v_dot2c_f32_f16 v89, v53, v33
	;;#ASMEND
	;;#ASMSTART
	v_dot2c_f32_f16 v82, v49, v33
	;;#ASMEND
	;;#ASMSTART
	v_dot2c_f32_f16 v88, v53, v29
	;;#ASMEND
	;;#ASMSTART
	v_dot2c_f32_f16 v81, v49, v29
	;;#ASMEND
	;;#ASMSTART
	v_dot2c_f32_f16 v87, v53, v21
	;;#ASMEND
	;;#ASMSTART
	v_dot2c_f32_f16 v86, v53, v17
	;;#ASMEND
	;;#ASMSTART
	v_dot2c_f32_f16 v85, v53, v13
	;;#ASMEND
	;;#ASMSTART
	v_dot2c_f32_f16 v80, v49, v21
	;;#ASMEND
	;;#ASMSTART
	v_dot2c_f32_f16 v79, v49, v17
	;;#ASMEND
	;;#ASMSTART
	v_dot2c_f32_f16 v78, v49, v13
	;;#ASMEND
	;;#ASMSTART
	v_dot2c_f32_f16 v77, v45, v41
	;;#ASMEND
	;;#ASMSTART
	v_dot2c_f32_f16 v76, v45, v37
	;;#ASMEND
	;;#ASMSTART
	v_dot2c_f32_f16 v75, v45, v33
	;;#ASMEND
	;;#ASMSTART
	v_dot2c_f32_f16 v74, v45, v29
	;;#ASMEND
	;;#ASMSTART
	v_dot2c_f32_f16 v73, v45, v21
	;;#ASMEND
	;;#ASMSTART
	v_dot2c_f32_f16 v72, v45, v17
	;;#ASMEND
	;;#ASMSTART
	v_dot2c_f32_f16 v71, v45, v13
	;;#ASMEND
	;;#ASMSTART
	v_dot2c_f32_f16 v70, v25, v41
	;;#ASMEND
	;;#ASMSTART
	v_dot2c_f32_f16 v69, v25, v37
	;;#ASMEND
	;;#ASMSTART
	v_dot2c_f32_f16 v68, v25, v33
	;;#ASMEND
	;;#ASMSTART
	v_dot2c_f32_f16 v67, v25, v29
	;;#ASMEND
	;;#ASMSTART
	v_dot2c_f32_f16 v66, v25, v21
	;;#ASMEND
	;;#ASMSTART
	v_dot2c_f32_f16 v65, v25, v17
	;;#ASMEND
	;;#ASMSTART
	v_dot2c_f32_f16 v64, v25, v13
	;;#ASMEND
	s_branch .LBB19_14
.LBB19_27:                              ;   in Loop: Header=BB19_12 Depth=1
	v_cmp_le_u32_e32 vcc, s25, v54
	s_and_saveexec_b64 s[6:7], vcc
	s_xor_b64 s[6:7], exec, s[6:7]
; %bb.28:                               ;   in Loop: Header=BB19_12 Depth=1
	v_add_u32_e32 v54, s42, v54
                                        ; implicit-def: $vgpr64
                                        ; implicit-def: $vgpr65
                                        ; implicit-def: $vgpr66
                                        ; implicit-def: $vgpr67
                                        ; implicit-def: $vgpr68
                                        ; implicit-def: $vgpr69
                                        ; implicit-def: $vgpr70
                                        ; implicit-def: $vgpr71
                                        ; implicit-def: $vgpr72
                                        ; implicit-def: $vgpr73
                                        ; implicit-def: $vgpr74
                                        ; implicit-def: $vgpr75
                                        ; implicit-def: $vgpr76
                                        ; implicit-def: $vgpr77
                                        ; implicit-def: $vgpr78
                                        ; implicit-def: $vgpr79
                                        ; implicit-def: $vgpr80
                                        ; implicit-def: $vgpr81
                                        ; implicit-def: $vgpr82
                                        ; implicit-def: $vgpr83
                                        ; implicit-def: $vgpr84
                                        ; implicit-def: $vgpr85
                                        ; implicit-def: $vgpr86
                                        ; implicit-def: $vgpr55
                                        ; implicit-def: $vgpr90
                                        ; implicit-def: $vgpr89
                                        ; implicit-def: $vgpr88
                                        ; implicit-def: $vgpr87
; %bb.29:                               ;   in Loop: Header=BB19_12 Depth=1
	s_andn2_saveexec_b64 s[34:35], s[6:7]
	s_cbranch_execz .LBB19_11
; %bb.30:                               ;   in Loop: Header=BB19_12 Depth=1
	;;#ASMSTART
	s_nop 0
	v_add_f32 v55, v55, v55 row_shr:8 bound_ctrl:0 
	;;#ASMEND
	;;#ASMSTART
	s_nop 0
	v_add_f32 v90, v90, v90 row_shr:8 bound_ctrl:0 
	;;#ASMEND
	;; [unrolled: 4-line block ×84, first 2 shown]
	;;#ASMSTART
	s_nop 0
	v_add_f32 v55, v55, v55 wave_shr:1 bound_ctrl:0
	;;#ASMEND
	;;#ASMSTART
	s_nop 0
	v_add_f32 v90, v90, v90 wave_shr:1 bound_ctrl:0
	;;#ASMEND
	;; [unrolled: 4-line block ×28, first 2 shown]
	;;#ASMSTART
	s_nop 0
	v_add_f32 v55, v55, v55 row_bcast:15 bound_ctrl:0
	;;#ASMEND
	;;#ASMSTART
	s_nop 0
	v_add_f32 v90, v90, v90 row_bcast:15 bound_ctrl:0
	;;#ASMEND
	;; [unrolled: 4-line block ×56, first 2 shown]
	s_and_saveexec_b64 s[36:37], s[0:1]
	s_cbranch_execz .LBB19_60
; %bb.31:                               ;   in Loop: Header=BB19_12 Depth=1
	v_cmp_ne_u32_e32 vcc, 0, v2
	s_and_saveexec_b64 s[8:9], vcc
	s_cbranch_execnz .LBB19_65
; %bb.32:                               ;   in Loop: Header=BB19_12 Depth=1
	s_or_b64 exec, exec, s[8:9]
	v_cmp_ne_u32_e64 s[6:7], 0, v3
	s_and_saveexec_b64 s[10:11], s[6:7]
	s_cbranch_execnz .LBB19_66
.LBB19_33:                              ;   in Loop: Header=BB19_12 Depth=1
	s_or_b64 exec, exec, s[10:11]
	v_cmp_ne_u32_e64 s[8:9], 0, v4
	s_and_saveexec_b64 s[12:13], s[8:9]
	s_cbranch_execnz .LBB19_67
.LBB19_34:                              ;   in Loop: Header=BB19_12 Depth=1
	s_or_b64 exec, exec, s[12:13]
	v_cmp_ne_u32_e64 s[10:11], 0, v5
	s_and_saveexec_b64 s[14:15], s[10:11]
	s_cbranch_execnz .LBB19_68
.LBB19_35:                              ;   in Loop: Header=BB19_12 Depth=1
	s_or_b64 exec, exec, s[14:15]
	v_cmp_ne_u32_e64 s[12:13], 0, v6
	s_and_saveexec_b64 s[16:17], s[12:13]
	s_cbranch_execnz .LBB19_69
.LBB19_36:                              ;   in Loop: Header=BB19_12 Depth=1
	s_or_b64 exec, exec, s[16:17]
	v_cmp_ne_u32_e64 s[14:15], 0, v7
	s_and_saveexec_b64 s[18:19], s[14:15]
	s_cbranch_execnz .LBB19_70
.LBB19_37:                              ;   in Loop: Header=BB19_12 Depth=1
	s_or_b64 exec, exec, s[18:19]
	v_cmp_ne_u32_e64 s[16:17], 0, v8
	s_and_saveexec_b64 s[38:39], s[16:17]
	s_cbranch_execnz .LBB19_71
.LBB19_38:                              ;   in Loop: Header=BB19_12 Depth=1
	s_or_b64 exec, exec, s[38:39]
	v_add_u32_e32 v58, s25, v54
	s_and_saveexec_b64 s[38:39], vcc
	s_cbranch_execnz .LBB19_72
.LBB19_39:                              ;   in Loop: Header=BB19_12 Depth=1
	s_or_b64 exec, exec, s[38:39]
	s_and_saveexec_b64 s[38:39], s[6:7]
	s_cbranch_execnz .LBB19_73
.LBB19_40:                              ;   in Loop: Header=BB19_12 Depth=1
	s_or_b64 exec, exec, s[38:39]
	s_and_saveexec_b64 s[38:39], s[8:9]
	s_cbranch_execnz .LBB19_74
.LBB19_41:                              ;   in Loop: Header=BB19_12 Depth=1
	s_or_b64 exec, exec, s[38:39]
	s_and_saveexec_b64 s[38:39], s[10:11]
	s_cbranch_execnz .LBB19_75
.LBB19_42:                              ;   in Loop: Header=BB19_12 Depth=1
	s_or_b64 exec, exec, s[38:39]
	s_and_saveexec_b64 s[38:39], s[12:13]
	s_cbranch_execnz .LBB19_76
.LBB19_43:                              ;   in Loop: Header=BB19_12 Depth=1
	s_or_b64 exec, exec, s[38:39]
	s_and_saveexec_b64 s[38:39], s[14:15]
	s_cbranch_execnz .LBB19_77
.LBB19_44:                              ;   in Loop: Header=BB19_12 Depth=1
	s_or_b64 exec, exec, s[38:39]
	s_and_saveexec_b64 s[38:39], s[16:17]
	s_cbranch_execnz .LBB19_78
.LBB19_45:                              ;   in Loop: Header=BB19_12 Depth=1
	s_or_b64 exec, exec, s[38:39]
	v_add_u32_e32 v58, s25, v58
	s_and_saveexec_b64 s[38:39], vcc
	s_cbranch_execnz .LBB19_79
.LBB19_46:                              ;   in Loop: Header=BB19_12 Depth=1
	s_or_b64 exec, exec, s[38:39]
	s_and_saveexec_b64 s[38:39], s[6:7]
	s_cbranch_execnz .LBB19_80
.LBB19_47:                              ;   in Loop: Header=BB19_12 Depth=1
	s_or_b64 exec, exec, s[38:39]
	s_and_saveexec_b64 s[38:39], s[8:9]
	s_cbranch_execnz .LBB19_81
.LBB19_48:                              ;   in Loop: Header=BB19_12 Depth=1
	s_or_b64 exec, exec, s[38:39]
	s_and_saveexec_b64 s[38:39], s[10:11]
	s_cbranch_execnz .LBB19_82
.LBB19_49:                              ;   in Loop: Header=BB19_12 Depth=1
	s_or_b64 exec, exec, s[38:39]
	s_and_saveexec_b64 s[38:39], s[12:13]
	s_cbranch_execnz .LBB19_83
.LBB19_50:                              ;   in Loop: Header=BB19_12 Depth=1
	s_or_b64 exec, exec, s[38:39]
	s_and_saveexec_b64 s[38:39], s[14:15]
	s_cbranch_execnz .LBB19_84
.LBB19_51:                              ;   in Loop: Header=BB19_12 Depth=1
	s_or_b64 exec, exec, s[38:39]
	s_and_saveexec_b64 s[38:39], s[16:17]
	s_cbranch_execnz .LBB19_85
.LBB19_52:                              ;   in Loop: Header=BB19_12 Depth=1
	s_or_b64 exec, exec, s[38:39]
	v_add_u32_e32 v58, s25, v58
	s_and_saveexec_b64 s[18:19], vcc
	s_cbranch_execnz .LBB19_86
.LBB19_53:                              ;   in Loop: Header=BB19_12 Depth=1
	s_or_b64 exec, exec, s[18:19]
	s_and_saveexec_b64 s[18:19], s[6:7]
	s_cbranch_execnz .LBB19_87
.LBB19_54:                              ;   in Loop: Header=BB19_12 Depth=1
	s_or_b64 exec, exec, s[18:19]
	s_and_saveexec_b64 s[6:7], s[8:9]
	s_cbranch_execnz .LBB19_88
.LBB19_55:                              ;   in Loop: Header=BB19_12 Depth=1
	s_or_b64 exec, exec, s[6:7]
	s_and_saveexec_b64 s[6:7], s[10:11]
	s_cbranch_execnz .LBB19_89
.LBB19_56:                              ;   in Loop: Header=BB19_12 Depth=1
	s_or_b64 exec, exec, s[6:7]
	s_and_saveexec_b64 s[6:7], s[12:13]
	s_cbranch_execnz .LBB19_90
.LBB19_57:                              ;   in Loop: Header=BB19_12 Depth=1
	s_or_b64 exec, exec, s[6:7]
	s_and_saveexec_b64 s[6:7], s[14:15]
	s_cbranch_execnz .LBB19_91
.LBB19_58:                              ;   in Loop: Header=BB19_12 Depth=1
	s_or_b64 exec, exec, s[6:7]
	s_and_b64 exec, exec, s[16:17]
	s_cbranch_execz .LBB19_60
.LBB19_59:                              ;   in Loop: Header=BB19_12 Depth=1
	v_cvt_f16_f32_e32 v12, v64
	v_add_u32_e32 v58, 6, v58
	v_lshlrev_b64 v[10:11], 1, v[58:59]
	v_mov_b32_e32 v13, s27
	v_add_co_u32_e32 v10, vcc, s26, v10
	v_addc_co_u32_e32 v11, vcc, v13, v11, vcc
	global_store_short v[10:11], v12, off
.LBB19_60:                              ;   in Loop: Header=BB19_12 Depth=1
	s_or_b64 exec, exec, s[36:37]
	v_add_u32_e32 v54, s42, v54
	v_add_u32_e32 v10, 7, v54
	v_cmp_gt_u32_e32 vcc, s25, v54
	v_cmp_le_u32_e64 s[6:7], s25, v10
	s_and_b64 s[6:7], vcc, s[6:7]
	s_and_saveexec_b64 s[8:9], s[6:7]
	s_cbranch_execz .LBB19_10
; %bb.61:                               ;   in Loop: Header=BB19_12 Depth=1
	v_cmp_ne_u32_e32 vcc, s43, v54
	s_and_saveexec_b64 s[10:11], vcc
	s_cbranch_execz .LBB19_9
; %bb.62:                               ;   in Loop: Header=BB19_12 Depth=1
	v_subrev_u32_e32 v10, s43, v54
	v_cmp_lt_u32_e32 vcc, 1, v10
	v_cndmask_b32_e32 v10, 1, v10, vcc
	s_mov_b64 s[12:13], 0
	s_mov_b64 s[14:15], 0
.LBB19_63:                              ;   Parent Loop BB19_12 Depth=1
                                        ; =>  This Inner Loop Header: Depth=2
	s_cmp_lg_u32 s14, 6
	s_cselect_b64 vcc, -1, 0
	s_cmp_lg_u32 s14, 5
	v_cndmask_b32_e32 v8, 0, v8, vcc
	s_cselect_b64 vcc, -1, 0
	s_cmp_lg_u32 s14, 4
	v_cndmask_b32_e32 v7, 0, v7, vcc
	;; [unrolled: 3-line block ×6, first 2 shown]
	s_cselect_b64 vcc, -1, 0
	s_add_u32 s14, s14, 1
	s_addc_u32 s15, s15, 0
	v_cmp_eq_u32_e64 s[6:7], s14, v10
	s_or_b64 s[12:13], s[6:7], s[12:13]
	v_cndmask_b32_e32 v2, 0, v2, vcc
	s_andn2_b64 exec, exec, s[12:13]
	s_cbranch_execnz .LBB19_63
; %bb.64:                               ;   in Loop: Header=BB19_12 Depth=1
	s_or_b64 exec, exec, s[12:13]
	s_branch .LBB19_9
.LBB19_65:                              ;   in Loop: Header=BB19_12 Depth=1
	v_cvt_f16_f32_e32 v12, v55
	v_mov_b32_e32 v55, v59
	v_lshlrev_b64 v[10:11], 1, v[54:55]
	v_mov_b32_e32 v13, s27
	v_add_co_u32_e64 v10, s[6:7], s26, v10
	v_addc_co_u32_e64 v11, s[6:7], v13, v11, s[6:7]
	global_store_short v[10:11], v12, off
	s_or_b64 exec, exec, s[8:9]
	v_cmp_ne_u32_e64 s[6:7], 0, v3
	s_and_saveexec_b64 s[10:11], s[6:7]
	s_cbranch_execz .LBB19_33
.LBB19_66:                              ;   in Loop: Header=BB19_12 Depth=1
	v_cvt_f16_f32_e32 v12, v90
	v_mov_b32_e32 v55, v59
	v_lshlrev_b64 v[10:11], 1, v[54:55]
	v_mov_b32_e32 v13, s45
	v_add_co_u32_e64 v10, s[8:9], s44, v10
	v_addc_co_u32_e64 v11, s[8:9], v13, v11, s[8:9]
	global_store_short v[10:11], v12, off
	s_or_b64 exec, exec, s[10:11]
	v_cmp_ne_u32_e64 s[8:9], 0, v4
	s_and_saveexec_b64 s[12:13], s[8:9]
	s_cbranch_execz .LBB19_34
.LBB19_67:                              ;   in Loop: Header=BB19_12 Depth=1
	v_cvt_f16_f32_e32 v12, v89
	v_add_u32_e32 v58, 2, v54
	v_lshlrev_b64 v[10:11], 1, v[58:59]
	v_mov_b32_e32 v13, s27
	v_add_co_u32_e64 v10, s[10:11], s26, v10
	v_addc_co_u32_e64 v11, s[10:11], v13, v11, s[10:11]
	global_store_short v[10:11], v12, off
	s_or_b64 exec, exec, s[12:13]
	v_cmp_ne_u32_e64 s[10:11], 0, v5
	s_and_saveexec_b64 s[14:15], s[10:11]
	s_cbranch_execz .LBB19_35
.LBB19_68:                              ;   in Loop: Header=BB19_12 Depth=1
	v_cvt_f16_f32_e32 v12, v88
	v_add_u32_e32 v58, 3, v54
	v_lshlrev_b64 v[10:11], 1, v[58:59]
	v_mov_b32_e32 v13, s27
	v_add_co_u32_e64 v10, s[12:13], s26, v10
	v_addc_co_u32_e64 v11, s[12:13], v13, v11, s[12:13]
	global_store_short v[10:11], v12, off
	s_or_b64 exec, exec, s[14:15]
	v_cmp_ne_u32_e64 s[12:13], 0, v6
	s_and_saveexec_b64 s[16:17], s[12:13]
	s_cbranch_execz .LBB19_36
.LBB19_69:                              ;   in Loop: Header=BB19_12 Depth=1
	v_cvt_f16_f32_e32 v12, v87
	v_add_u32_e32 v58, 4, v54
	v_lshlrev_b64 v[10:11], 1, v[58:59]
	v_mov_b32_e32 v13, s27
	v_add_co_u32_e64 v10, s[14:15], s26, v10
	v_addc_co_u32_e64 v11, s[14:15], v13, v11, s[14:15]
	global_store_short v[10:11], v12, off
	s_or_b64 exec, exec, s[16:17]
	v_cmp_ne_u32_e64 s[14:15], 0, v7
	s_and_saveexec_b64 s[18:19], s[14:15]
	s_cbranch_execz .LBB19_37
.LBB19_70:                              ;   in Loop: Header=BB19_12 Depth=1
	v_cvt_f16_f32_e32 v12, v86
	v_add_u32_e32 v58, 5, v54
	v_lshlrev_b64 v[10:11], 1, v[58:59]
	v_mov_b32_e32 v13, s27
	v_add_co_u32_e64 v10, s[16:17], s26, v10
	v_addc_co_u32_e64 v11, s[16:17], v13, v11, s[16:17]
	global_store_short v[10:11], v12, off
	s_or_b64 exec, exec, s[18:19]
	v_cmp_ne_u32_e64 s[16:17], 0, v8
	s_and_saveexec_b64 s[38:39], s[16:17]
	s_cbranch_execz .LBB19_38
.LBB19_71:                              ;   in Loop: Header=BB19_12 Depth=1
	v_cvt_f16_f32_e32 v12, v85
	v_add_u32_e32 v58, 6, v54
	v_lshlrev_b64 v[10:11], 1, v[58:59]
	v_mov_b32_e32 v13, s27
	v_add_co_u32_e64 v10, s[18:19], s26, v10
	v_addc_co_u32_e64 v11, s[18:19], v13, v11, s[18:19]
	global_store_short v[10:11], v12, off
	s_or_b64 exec, exec, s[38:39]
	v_add_u32_e32 v58, s25, v54
	s_and_saveexec_b64 s[38:39], vcc
	s_cbranch_execz .LBB19_39
.LBB19_72:                              ;   in Loop: Header=BB19_12 Depth=1
	v_cvt_f16_f32_e32 v12, v84
	v_lshlrev_b64 v[10:11], 1, v[58:59]
	v_mov_b32_e32 v13, s27
	v_add_co_u32_e64 v10, s[18:19], s26, v10
	v_addc_co_u32_e64 v11, s[18:19], v13, v11, s[18:19]
	global_store_short v[10:11], v12, off
	s_or_b64 exec, exec, s[38:39]
	s_and_saveexec_b64 s[38:39], s[6:7]
	s_cbranch_execz .LBB19_40
.LBB19_73:                              ;   in Loop: Header=BB19_12 Depth=1
	v_cvt_f16_f32_e32 v12, v83
	v_add_u32_e32 v10, 1, v58
	v_mov_b32_e32 v11, v59
	v_lshlrev_b64 v[10:11], 1, v[10:11]
	v_mov_b32_e32 v13, s27
	v_add_co_u32_e64 v10, s[18:19], s26, v10
	v_addc_co_u32_e64 v11, s[18:19], v13, v11, s[18:19]
	global_store_short v[10:11], v12, off
	s_or_b64 exec, exec, s[38:39]
	s_and_saveexec_b64 s[38:39], s[8:9]
	s_cbranch_execz .LBB19_41
.LBB19_74:                              ;   in Loop: Header=BB19_12 Depth=1
	v_cvt_f16_f32_e32 v12, v82
	v_add_u32_e32 v10, 2, v58
	v_mov_b32_e32 v11, v59
	v_lshlrev_b64 v[10:11], 1, v[10:11]
	v_mov_b32_e32 v13, s27
	v_add_co_u32_e64 v10, s[18:19], s26, v10
	v_addc_co_u32_e64 v11, s[18:19], v13, v11, s[18:19]
	global_store_short v[10:11], v12, off
	s_or_b64 exec, exec, s[38:39]
	s_and_saveexec_b64 s[38:39], s[10:11]
	s_cbranch_execz .LBB19_42
.LBB19_75:                              ;   in Loop: Header=BB19_12 Depth=1
	v_cvt_f16_f32_e32 v12, v81
	v_add_u32_e32 v10, 3, v58
	v_mov_b32_e32 v11, v59
	v_lshlrev_b64 v[10:11], 1, v[10:11]
	v_mov_b32_e32 v13, s27
	v_add_co_u32_e64 v10, s[18:19], s26, v10
	v_addc_co_u32_e64 v11, s[18:19], v13, v11, s[18:19]
	global_store_short v[10:11], v12, off
	s_or_b64 exec, exec, s[38:39]
	s_and_saveexec_b64 s[38:39], s[12:13]
	s_cbranch_execz .LBB19_43
.LBB19_76:                              ;   in Loop: Header=BB19_12 Depth=1
	v_cvt_f16_f32_e32 v12, v80
	v_add_u32_e32 v10, 4, v58
	v_mov_b32_e32 v11, v59
	v_lshlrev_b64 v[10:11], 1, v[10:11]
	v_mov_b32_e32 v13, s27
	v_add_co_u32_e64 v10, s[18:19], s26, v10
	v_addc_co_u32_e64 v11, s[18:19], v13, v11, s[18:19]
	global_store_short v[10:11], v12, off
	s_or_b64 exec, exec, s[38:39]
	s_and_saveexec_b64 s[38:39], s[14:15]
	s_cbranch_execz .LBB19_44
.LBB19_77:                              ;   in Loop: Header=BB19_12 Depth=1
	v_cvt_f16_f32_e32 v12, v79
	v_add_u32_e32 v10, 5, v58
	v_mov_b32_e32 v11, v59
	v_lshlrev_b64 v[10:11], 1, v[10:11]
	v_mov_b32_e32 v13, s27
	v_add_co_u32_e64 v10, s[18:19], s26, v10
	v_addc_co_u32_e64 v11, s[18:19], v13, v11, s[18:19]
	global_store_short v[10:11], v12, off
	s_or_b64 exec, exec, s[38:39]
	s_and_saveexec_b64 s[38:39], s[16:17]
	s_cbranch_execz .LBB19_45
.LBB19_78:                              ;   in Loop: Header=BB19_12 Depth=1
	v_cvt_f16_f32_e32 v12, v78
	v_add_u32_e32 v10, 6, v58
	v_mov_b32_e32 v11, v59
	v_lshlrev_b64 v[10:11], 1, v[10:11]
	v_mov_b32_e32 v13, s27
	v_add_co_u32_e64 v10, s[18:19], s26, v10
	v_addc_co_u32_e64 v11, s[18:19], v13, v11, s[18:19]
	global_store_short v[10:11], v12, off
	s_or_b64 exec, exec, s[38:39]
	v_add_u32_e32 v58, s25, v58
	s_and_saveexec_b64 s[38:39], vcc
	s_cbranch_execz .LBB19_46
.LBB19_79:                              ;   in Loop: Header=BB19_12 Depth=1
	v_cvt_f16_f32_e32 v12, v77
	v_lshlrev_b64 v[10:11], 1, v[58:59]
	v_mov_b32_e32 v13, s27
	v_add_co_u32_e64 v10, s[18:19], s26, v10
	v_addc_co_u32_e64 v11, s[18:19], v13, v11, s[18:19]
	global_store_short v[10:11], v12, off
	s_or_b64 exec, exec, s[38:39]
	s_and_saveexec_b64 s[38:39], s[6:7]
	s_cbranch_execz .LBB19_47
.LBB19_80:                              ;   in Loop: Header=BB19_12 Depth=1
	v_cvt_f16_f32_e32 v12, v76
	v_add_u32_e32 v10, 1, v58
	v_mov_b32_e32 v11, v59
	v_lshlrev_b64 v[10:11], 1, v[10:11]
	v_mov_b32_e32 v13, s27
	v_add_co_u32_e64 v10, s[18:19], s26, v10
	v_addc_co_u32_e64 v11, s[18:19], v13, v11, s[18:19]
	global_store_short v[10:11], v12, off
	s_or_b64 exec, exec, s[38:39]
	s_and_saveexec_b64 s[38:39], s[8:9]
	s_cbranch_execz .LBB19_48
.LBB19_81:                              ;   in Loop: Header=BB19_12 Depth=1
	v_cvt_f16_f32_e32 v12, v75
	v_add_u32_e32 v10, 2, v58
	v_mov_b32_e32 v11, v59
	v_lshlrev_b64 v[10:11], 1, v[10:11]
	v_mov_b32_e32 v13, s27
	v_add_co_u32_e64 v10, s[18:19], s26, v10
	v_addc_co_u32_e64 v11, s[18:19], v13, v11, s[18:19]
	global_store_short v[10:11], v12, off
	s_or_b64 exec, exec, s[38:39]
	s_and_saveexec_b64 s[38:39], s[10:11]
	s_cbranch_execz .LBB19_49
.LBB19_82:                              ;   in Loop: Header=BB19_12 Depth=1
	v_cvt_f16_f32_e32 v12, v74
	v_add_u32_e32 v10, 3, v58
	v_mov_b32_e32 v11, v59
	v_lshlrev_b64 v[10:11], 1, v[10:11]
	v_mov_b32_e32 v13, s27
	v_add_co_u32_e64 v10, s[18:19], s26, v10
	v_addc_co_u32_e64 v11, s[18:19], v13, v11, s[18:19]
	global_store_short v[10:11], v12, off
	s_or_b64 exec, exec, s[38:39]
	s_and_saveexec_b64 s[38:39], s[12:13]
	s_cbranch_execz .LBB19_50
.LBB19_83:                              ;   in Loop: Header=BB19_12 Depth=1
	v_cvt_f16_f32_e32 v12, v73
	v_add_u32_e32 v10, 4, v58
	v_mov_b32_e32 v11, v59
	v_lshlrev_b64 v[10:11], 1, v[10:11]
	v_mov_b32_e32 v13, s27
	v_add_co_u32_e64 v10, s[18:19], s26, v10
	v_addc_co_u32_e64 v11, s[18:19], v13, v11, s[18:19]
	global_store_short v[10:11], v12, off
	s_or_b64 exec, exec, s[38:39]
	s_and_saveexec_b64 s[38:39], s[14:15]
	s_cbranch_execz .LBB19_51
.LBB19_84:                              ;   in Loop: Header=BB19_12 Depth=1
	v_cvt_f16_f32_e32 v12, v72
	v_add_u32_e32 v10, 5, v58
	v_mov_b32_e32 v11, v59
	v_lshlrev_b64 v[10:11], 1, v[10:11]
	v_mov_b32_e32 v13, s27
	v_add_co_u32_e64 v10, s[18:19], s26, v10
	v_addc_co_u32_e64 v11, s[18:19], v13, v11, s[18:19]
	global_store_short v[10:11], v12, off
	s_or_b64 exec, exec, s[38:39]
	s_and_saveexec_b64 s[38:39], s[16:17]
	s_cbranch_execz .LBB19_52
.LBB19_85:                              ;   in Loop: Header=BB19_12 Depth=1
	v_cvt_f16_f32_e32 v12, v71
	v_add_u32_e32 v10, 6, v58
	v_mov_b32_e32 v11, v59
	v_lshlrev_b64 v[10:11], 1, v[10:11]
	v_mov_b32_e32 v13, s27
	v_add_co_u32_e64 v10, s[18:19], s26, v10
	v_addc_co_u32_e64 v11, s[18:19], v13, v11, s[18:19]
	global_store_short v[10:11], v12, off
	s_or_b64 exec, exec, s[38:39]
	v_add_u32_e32 v58, s25, v58
	s_and_saveexec_b64 s[18:19], vcc
	s_cbranch_execz .LBB19_53
.LBB19_86:                              ;   in Loop: Header=BB19_12 Depth=1
	v_cvt_f16_f32_e32 v12, v70
	v_lshlrev_b64 v[10:11], 1, v[58:59]
	v_mov_b32_e32 v13, s27
	v_add_co_u32_e32 v10, vcc, s26, v10
	v_addc_co_u32_e32 v11, vcc, v13, v11, vcc
	global_store_short v[10:11], v12, off
	s_or_b64 exec, exec, s[18:19]
	s_and_saveexec_b64 s[18:19], s[6:7]
	s_cbranch_execz .LBB19_54
.LBB19_87:                              ;   in Loop: Header=BB19_12 Depth=1
	v_cvt_f16_f32_e32 v12, v69
	v_add_u32_e32 v10, 1, v58
	v_mov_b32_e32 v11, v59
	v_lshlrev_b64 v[10:11], 1, v[10:11]
	v_mov_b32_e32 v13, s27
	v_add_co_u32_e32 v10, vcc, s26, v10
	v_addc_co_u32_e32 v11, vcc, v13, v11, vcc
	global_store_short v[10:11], v12, off
	s_or_b64 exec, exec, s[18:19]
	s_and_saveexec_b64 s[6:7], s[8:9]
	s_cbranch_execz .LBB19_55
.LBB19_88:                              ;   in Loop: Header=BB19_12 Depth=1
	v_cvt_f16_f32_e32 v12, v68
	v_add_u32_e32 v10, 2, v58
	v_mov_b32_e32 v11, v59
	v_lshlrev_b64 v[10:11], 1, v[10:11]
	v_mov_b32_e32 v13, s27
	v_add_co_u32_e32 v10, vcc, s26, v10
	v_addc_co_u32_e32 v11, vcc, v13, v11, vcc
	global_store_short v[10:11], v12, off
	s_or_b64 exec, exec, s[6:7]
	s_and_saveexec_b64 s[6:7], s[10:11]
	s_cbranch_execz .LBB19_56
.LBB19_89:                              ;   in Loop: Header=BB19_12 Depth=1
	v_cvt_f16_f32_e32 v12, v67
	v_add_u32_e32 v10, 3, v58
	v_mov_b32_e32 v11, v59
	v_lshlrev_b64 v[10:11], 1, v[10:11]
	v_mov_b32_e32 v13, s27
	v_add_co_u32_e32 v10, vcc, s26, v10
	v_addc_co_u32_e32 v11, vcc, v13, v11, vcc
	global_store_short v[10:11], v12, off
	s_or_b64 exec, exec, s[6:7]
	s_and_saveexec_b64 s[6:7], s[12:13]
	s_cbranch_execz .LBB19_57
.LBB19_90:                              ;   in Loop: Header=BB19_12 Depth=1
	v_cvt_f16_f32_e32 v12, v66
	v_add_u32_e32 v10, 4, v58
	v_mov_b32_e32 v11, v59
	v_lshlrev_b64 v[10:11], 1, v[10:11]
	v_mov_b32_e32 v13, s27
	v_add_co_u32_e32 v10, vcc, s26, v10
	v_addc_co_u32_e32 v11, vcc, v13, v11, vcc
	global_store_short v[10:11], v12, off
	s_or_b64 exec, exec, s[6:7]
	s_and_saveexec_b64 s[6:7], s[14:15]
	s_cbranch_execz .LBB19_58
.LBB19_91:                              ;   in Loop: Header=BB19_12 Depth=1
	v_cvt_f16_f32_e32 v12, v65
	v_add_u32_e32 v10, 5, v58
	v_mov_b32_e32 v11, v59
	v_lshlrev_b64 v[10:11], 1, v[10:11]
	v_mov_b32_e32 v13, s27
	v_add_co_u32_e32 v10, vcc, s26, v10
	v_addc_co_u32_e32 v11, vcc, v13, v11, vcc
	global_store_short v[10:11], v12, off
	s_or_b64 exec, exec, s[6:7]
	s_and_b64 exec, exec, s[16:17]
	s_cbranch_execnz .LBB19_59
	s_branch .LBB19_60
.LBB19_92:
	s_endpgm
	.section	.rodata,"a",@progbits
	.p2align	6, 0x0
	.amdhsa_kernel _Z16wvSplitK_hf_big_I6__halfLi64ELi7ELi16ELi8ELi1ELi4EEviiPKT_S3_PS1_ii
		.amdhsa_group_segment_fixed_size 65536
		.amdhsa_private_segment_fixed_size 0
		.amdhsa_kernarg_size 40
		.amdhsa_user_sgpr_count 6
		.amdhsa_user_sgpr_private_segment_buffer 1
		.amdhsa_user_sgpr_dispatch_ptr 0
		.amdhsa_user_sgpr_queue_ptr 0
		.amdhsa_user_sgpr_kernarg_segment_ptr 1
		.amdhsa_user_sgpr_dispatch_id 0
		.amdhsa_user_sgpr_flat_scratch_init 0
		.amdhsa_user_sgpr_kernarg_preload_length 0
		.amdhsa_user_sgpr_kernarg_preload_offset 0
		.amdhsa_user_sgpr_private_segment_size 0
		.amdhsa_uses_dynamic_stack 0
		.amdhsa_system_sgpr_private_segment_wavefront_offset 0
		.amdhsa_system_sgpr_workgroup_id_x 1
		.amdhsa_system_sgpr_workgroup_id_y 0
		.amdhsa_system_sgpr_workgroup_id_z 0
		.amdhsa_system_sgpr_workgroup_info 0
		.amdhsa_system_vgpr_workitem_id 1
		.amdhsa_next_free_vgpr 92
		.amdhsa_next_free_sgpr 48
		.amdhsa_accum_offset 92
		.amdhsa_reserve_vcc 1
		.amdhsa_reserve_flat_scratch 0
		.amdhsa_float_round_mode_32 0
		.amdhsa_float_round_mode_16_64 0
		.amdhsa_float_denorm_mode_32 3
		.amdhsa_float_denorm_mode_16_64 3
		.amdhsa_dx10_clamp 1
		.amdhsa_ieee_mode 1
		.amdhsa_fp16_overflow 0
		.amdhsa_tg_split 0
		.amdhsa_exception_fp_ieee_invalid_op 0
		.amdhsa_exception_fp_denorm_src 0
		.amdhsa_exception_fp_ieee_div_zero 0
		.amdhsa_exception_fp_ieee_overflow 0
		.amdhsa_exception_fp_ieee_underflow 0
		.amdhsa_exception_fp_ieee_inexact 0
		.amdhsa_exception_int_div_zero 0
	.end_amdhsa_kernel
	.section	.text._Z16wvSplitK_hf_big_I6__halfLi64ELi7ELi16ELi8ELi1ELi4EEviiPKT_S3_PS1_ii,"axG",@progbits,_Z16wvSplitK_hf_big_I6__halfLi64ELi7ELi16ELi8ELi1ELi4EEviiPKT_S3_PS1_ii,comdat
.Lfunc_end19:
	.size	_Z16wvSplitK_hf_big_I6__halfLi64ELi7ELi16ELi8ELi1ELi4EEviiPKT_S3_PS1_ii, .Lfunc_end19-_Z16wvSplitK_hf_big_I6__halfLi64ELi7ELi16ELi8ELi1ELi4EEviiPKT_S3_PS1_ii
                                        ; -- End function
	.section	.AMDGPU.csdata,"",@progbits
; Kernel info:
; codeLenInByte = 7476
; NumSgprs: 52
; NumVgprs: 92
; NumAgprs: 0
; TotalNumVgprs: 92
; ScratchSize: 0
; MemoryBound: 0
; FloatMode: 240
; IeeeMode: 1
; LDSByteSize: 65536 bytes/workgroup (compile time only)
; SGPRBlocks: 6
; VGPRBlocks: 11
; NumSGPRsForWavesPerEU: 52
; NumVGPRsForWavesPerEU: 92
; AccumOffset: 92
; Occupancy: 4
; WaveLimiterHint : 0
; COMPUTE_PGM_RSRC2:SCRATCH_EN: 0
; COMPUTE_PGM_RSRC2:USER_SGPR: 6
; COMPUTE_PGM_RSRC2:TRAP_HANDLER: 0
; COMPUTE_PGM_RSRC2:TGID_X_EN: 1
; COMPUTE_PGM_RSRC2:TGID_Y_EN: 0
; COMPUTE_PGM_RSRC2:TGID_Z_EN: 0
; COMPUTE_PGM_RSRC2:TIDIG_COMP_CNT: 1
; COMPUTE_PGM_RSRC3_GFX90A:ACCUM_OFFSET: 22
; COMPUTE_PGM_RSRC3_GFX90A:TG_SPLIT: 0
	.section	.text._Z16wvSplitK_hf_sml_I14__hip_bfloat16Li64ELi2ELi16ELi8ELi2ELi1EEviiPKT_S3_PS1_ii,"axG",@progbits,_Z16wvSplitK_hf_sml_I14__hip_bfloat16Li64ELi2ELi16ELi8ELi2ELi1EEviiPKT_S3_PS1_ii,comdat
	.protected	_Z16wvSplitK_hf_sml_I14__hip_bfloat16Li64ELi2ELi16ELi8ELi2ELi1EEviiPKT_S3_PS1_ii ; -- Begin function _Z16wvSplitK_hf_sml_I14__hip_bfloat16Li64ELi2ELi16ELi8ELi2ELi1EEviiPKT_S3_PS1_ii
	.globl	_Z16wvSplitK_hf_sml_I14__hip_bfloat16Li64ELi2ELi16ELi8ELi2ELi1EEviiPKT_S3_PS1_ii
	.p2align	8
	.type	_Z16wvSplitK_hf_sml_I14__hip_bfloat16Li64ELi2ELi16ELi8ELi2ELi1EEviiPKT_S3_PS1_ii,@function
_Z16wvSplitK_hf_sml_I14__hip_bfloat16Li64ELi2ELi16ELi8ELi2ELi1EEviiPKT_S3_PS1_ii: ; @_Z16wvSplitK_hf_sml_I14__hip_bfloat16Li64ELi2ELi16ELi8ELi2ELi1EEviiPKT_S3_PS1_ii
; %bb.0:
	s_load_dwordx2 s[8:9], s[4:5], 0x0
	v_and_b32_e32 v2, 0x3ff, v0
	v_bfe_u32 v3, v0, 10, 10
	v_lshlrev_b32_e32 v32, 3, v2
	s_mov_b32 s7, 0
	s_waitcnt lgkmcnt(0)
	s_cmp_lg_u32 s8, 0
	s_cselect_b64 s[2:3], -1, 0
	s_cmp_eq_u32 s8, 0
	s_cbranch_scc1 .LBB20_6
; %bb.1:
	s_load_dwordx2 s[0:1], s[4:5], 0x10
	v_lshlrev_b32_e32 v0, 4, v2
	s_min_i32 s16, s8, 0x8000
	v_lshl_add_u32 v4, v3, 10, v0
	v_lshl_add_u32 v5, v3, 9, v32
	s_mov_b64 s[10:11], 0
	v_mov_b32_e32 v1, 0
                                        ; implicit-def: $sgpr12_sgpr13
	s_branch .LBB20_3
.LBB20_2:                               ;   in Loop: Header=BB20_3 Depth=1
	s_or_b64 exec, exec, s[14:15]
	s_and_b64 s[14:15], exec, s[12:13]
	s_or_b64 s[10:11], s[14:15], s[10:11]
	s_andn2_b64 exec, exec, s[10:11]
	s_cbranch_execz .LBB20_5
.LBB20_3:                               ; =>This Inner Loop Header: Depth=1
	v_add_u32_e32 v0, s7, v5
	v_cmp_gt_u32_e32 vcc, s16, v0
	s_or_b64 s[12:13], s[12:13], exec
	s_and_saveexec_b64 s[14:15], vcc
	s_cbranch_execz .LBB20_2
; %bb.4:                                ;   in Loop: Header=BB20_3 Depth=1
	v_lshlrev_b64 v[6:7], 1, v[0:1]
	s_waitcnt lgkmcnt(0)
	v_mov_b32_e32 v0, s1
	v_add_co_u32_e32 v6, vcc, s0, v6
	v_addc_co_u32_e32 v7, vcc, v0, v7, vcc
	global_load_dwordx4 v[6:9], v[6:7], off
	s_addk_i32 s7, 0x2000
	s_cmp_ge_u32 s7, s16
	s_cselect_b64 s[18:19], -1, 0
	s_andn2_b64 s[12:13], s[12:13], exec
	s_and_b64 s[18:19], s[18:19], exec
	s_or_b64 s[12:13], s[12:13], s[18:19]
	s_waitcnt vmcnt(0)
	ds_write_b128 v4, v[6:9]
	v_add_u32_e32 v4, 0x4000, v4
	s_branch .LBB20_2
.LBB20_5:
	s_or_b64 exec, exec, s[10:11]
.LBB20_6:
	s_waitcnt lgkmcnt(0)
	s_load_dwordx2 s[0:1], s[4:5], 0x20
	s_waitcnt lgkmcnt(0)
	s_barrier
	v_cmp_gt_u32_e32 vcc, s0, v3
	s_and_saveexec_b64 s[10:11], vcc
	s_cbranch_execz .LBB20_36
; %bb.7:
	s_mul_i32 s6, s6, s0
	v_add_u32_e32 v0, s6, v3
	v_lshlrev_b32_e32 v24, 1, v0
	v_cmp_gt_u32_e32 vcc, s9, v24
	s_and_b64 exec, exec, vcc
	s_cbranch_execz .LBB20_36
; %bb.8:
	s_load_dwordx2 s[6:7], s[4:5], 0x8
	s_load_dwordx2 s[10:11], s[4:5], 0x18
	s_mul_i32 s12, s0, s1
	v_mul_lo_u32 v0, s8, v0
	s_lshl_b32 s20, s12, 1
	s_ashr_i32 s5, s8, 31
	s_mov_b32 s4, s8
	v_lshlrev_b32_e32 v34, 1, v0
	s_mul_i32 s12, s12, s8
	v_cndmask_b32_e64 v0, 0, 1, s[2:3]
	v_cmp_eq_u32_e64 s[0:1], 63, v2
	v_lshlrev_b32_e32 v33, 4, v2
	s_lshl_b32 s21, s12, 1
	s_mov_b64 s[12:13], 0
	v_cmp_ne_u32_e64 s[2:3], 1, v0
	v_mov_b32_e32 v27, 0
	s_lshl_b64 s[14:15], s[4:5], 1
	s_mov_b32 s22, 0x7f800000
	s_movk_i32 s23, 0x7fff
                                        ; implicit-def: $vgpr12_vgpr13_vgpr14_vgpr15
                                        ; implicit-def: $vgpr20_vgpr21_vgpr22_vgpr23
                                        ; implicit-def: $vgpr8_vgpr9_vgpr10_vgpr11
                                        ; implicit-def: $vgpr16_vgpr17_vgpr18_vgpr19
                                        ; implicit-def: $vgpr3
                                        ; implicit-def: $vgpr7
	s_branch .LBB20_11
.LBB20_9:                               ;   in Loop: Header=BB20_11 Depth=1
	s_or_b64 exec, exec, s[16:17]
	global_store_short_d16_hi v[30:31], v25, off offset:2
.LBB20_10:                              ;   in Loop: Header=BB20_11 Depth=1
	s_or_b64 exec, exec, s[4:5]
	v_add_u32_e32 v24, s20, v24
	v_cmp_le_u32_e32 vcc, s9, v24
	s_or_b64 s[12:13], vcc, s[12:13]
	v_add_u32_e32 v34, s21, v34
	s_andn2_b64 exec, exec, s[12:13]
	s_cbranch_execz .LBB20_36
.LBB20_11:                              ; =>This Loop Header: Depth=1
                                        ;     Child Loop BB20_15 Depth 2
	s_and_b64 vcc, exec, s[2:3]
	s_cbranch_vccnz .LBB20_26
; %bb.12:                               ;   in Loop: Header=BB20_11 Depth=1
	v_mov_b32_e32 v28, 0
	v_add_u32_e32 v25, v32, v34
	s_mov_b32 s24, 0
	v_mov_b32_e32 v30, v33
	v_mov_b32_e32 v29, v28
	s_branch .LBB20_15
.LBB20_13:                              ;   in Loop: Header=BB20_15 Depth=2
	s_or_b64 exec, exec, s[16:17]
.LBB20_14:                              ;   in Loop: Header=BB20_15 Depth=2
	s_or_b64 exec, exec, s[4:5]
	s_addk_i32 s24, 0x400
	s_cmp_ge_u32 s24, s8
	v_add_u32_e32 v30, 0x800, v30
	s_cbranch_scc1 .LBB20_27
.LBB20_15:                              ;   Parent Loop BB20_11 Depth=1
                                        ; =>  This Inner Loop Header: Depth=2
	v_add_u32_e32 v26, s24, v32
	v_cmp_gt_u32_e32 vcc, s8, v26
	v_add_u32_e32 v31, 0x200, v26
	s_and_saveexec_b64 s[16:17], vcc
	s_cbranch_execnz .LBB20_18
; %bb.16:                               ;   in Loop: Header=BB20_15 Depth=2
	s_or_b64 exec, exec, s[16:17]
	s_and_saveexec_b64 s[16:17], vcc
	s_cbranch_execnz .LBB20_21
.LBB20_17:                              ;   in Loop: Header=BB20_15 Depth=2
	s_or_b64 exec, exec, s[16:17]
	s_and_saveexec_b64 s[4:5], vcc
	s_cbranch_execz .LBB20_14
	s_branch .LBB20_24
.LBB20_18:                              ;   in Loop: Header=BB20_15 Depth=2
	v_add_u32_e32 v26, s24, v25
	s_waitcnt vmcnt(1)
	v_lshlrev_b64 v[16:17], 1, v[26:27]
	s_waitcnt lgkmcnt(0)
	v_mov_b32_e32 v18, s7
	v_add_co_u32_e64 v36, s[4:5], s6, v16
	v_addc_co_u32_e64 v37, s[4:5], v18, v17, s[4:5]
	v_mov_b32_e32 v16, s15
	v_add_co_u32_e64 v38, s[4:5], s14, v36
	v_addc_co_u32_e64 v39, s[4:5], v37, v16, s[4:5]
	global_load_dwordx4 v[16:19], v[36:37], off glc slc
	global_load_dwordx4 v[20:23], v[38:39], off glc slc
	v_cmp_gt_u32_e64 s[4:5], s8, v31
	s_and_saveexec_b64 s[18:19], s[4:5]
	s_cbranch_execz .LBB20_20
; %bb.19:                               ;   in Loop: Header=BB20_15 Depth=2
	v_add_u32_e32 v26, 0x200, v26
	v_lshlrev_b64 v[8:9], 1, v[26:27]
	v_mov_b32_e32 v10, s7
	v_add_co_u32_e64 v36, s[4:5], s6, v8
	v_addc_co_u32_e64 v37, s[4:5], v10, v9, s[4:5]
	v_mov_b32_e32 v8, s15
	v_add_co_u32_e64 v38, s[4:5], s14, v36
	v_addc_co_u32_e64 v39, s[4:5], v37, v8, s[4:5]
	global_load_dwordx4 v[8:11], v[36:37], off glc slc
	global_load_dwordx4 v[12:15], v[38:39], off glc slc
.LBB20_20:                              ;   in Loop: Header=BB20_15 Depth=2
	s_or_b64 exec, exec, s[18:19]
	s_or_b64 exec, exec, s[16:17]
	s_and_saveexec_b64 s[16:17], vcc
	s_cbranch_execz .LBB20_17
.LBB20_21:                              ;   in Loop: Header=BB20_15 Depth=2
	s_waitcnt lgkmcnt(0)
	ds_read_b128 v[4:7], v30
	v_cmp_gt_u32_e64 s[4:5], s8, v31
	s_and_saveexec_b64 s[18:19], s[4:5]
	s_cbranch_execz .LBB20_23
; %bb.22:                               ;   in Loop: Header=BB20_15 Depth=2
	ds_read_b128 v[0:3], v30 offset:1024
.LBB20_23:                              ;   in Loop: Header=BB20_15 Depth=2
	s_or_b64 exec, exec, s[18:19]
	s_or_b64 exec, exec, s[16:17]
	s_and_saveexec_b64 s[4:5], vcc
	s_cbranch_execz .LBB20_14
.LBB20_24:                              ;   in Loop: Header=BB20_15 Depth=2
	s_waitcnt lgkmcnt(0)
	v_and_b32_e32 v37, 0xffff0000, v4
	v_lshlrev_b32_e32 v36, 16, v4
	s_waitcnt vmcnt(1)
	v_and_b32_e32 v39, 0xffff0000, v16
	v_lshlrev_b32_e32 v38, 16, v16
	s_waitcnt vmcnt(0)
	v_and_b32_e32 v53, 0xffff0000, v20
	v_lshlrev_b32_e32 v52, 16, v20
	v_pk_mul_f32 v[38:39], v[36:37], v[38:39]
	v_and_b32_e32 v41, 0xffff0000, v5
	v_lshlrev_b32_e32 v40, 16, v5
	v_and_b32_e32 v43, 0xffff0000, v17
	v_lshlrev_b32_e32 v42, 16, v17
	v_pk_mul_f32 v[36:37], v[36:37], v[52:53]
	v_and_b32_e32 v53, 0xffff0000, v21
	v_lshlrev_b32_e32 v52, 16, v21
	v_pk_mul_f32 v[42:43], v[40:41], v[42:43]
	v_and_b32_e32 v45, 0xffff0000, v6
	v_lshlrev_b32_e32 v44, 16, v6
	v_and_b32_e32 v47, 0xffff0000, v18
	v_lshlrev_b32_e32 v46, 16, v18
	v_pk_mul_f32 v[40:41], v[40:41], v[52:53]
	v_and_b32_e32 v53, 0xffff0000, v22
	v_lshlrev_b32_e32 v52, 16, v22
	v_pk_mul_f32 v[46:47], v[44:45], v[46:47]
	v_and_b32_e32 v49, 0xffff0000, v7
	v_lshlrev_b32_e32 v48, 16, v7
	v_and_b32_e32 v51, 0xffff0000, v19
	v_lshlrev_b32_e32 v50, 16, v19
	v_pk_mul_f32 v[44:45], v[44:45], v[52:53]
	v_and_b32_e32 v53, 0xffff0000, v23
	v_lshlrev_b32_e32 v52, 16, v23
	v_pk_mul_f32 v[50:51], v[48:49], v[50:51]
	v_pk_mul_f32 v[48:49], v[48:49], v[52:53]
	v_mov_b32_e32 v52, v36
	v_mov_b32_e32 v53, v38
	v_mov_b32_e32 v38, v37
	v_pk_add_f32 v[36:37], v[52:53], v[38:39]
	v_pk_add_f32 v[28:29], v[28:29], v[36:37]
	v_mov_b32_e32 v36, v40
	v_mov_b32_e32 v37, v42
	v_mov_b32_e32 v42, v41
	v_pk_add_f32 v[36:37], v[36:37], v[42:43]
	v_pk_add_f32 v[28:29], v[28:29], v[36:37]
	v_mov_b32_e32 v36, v44
	v_mov_b32_e32 v37, v46
	v_mov_b32_e32 v46, v45
	v_pk_add_f32 v[36:37], v[36:37], v[46:47]
	v_pk_add_f32 v[28:29], v[28:29], v[36:37]
	v_mov_b32_e32 v36, v48
	v_mov_b32_e32 v37, v50
	v_mov_b32_e32 v50, v49
	v_pk_add_f32 v[36:37], v[36:37], v[50:51]
	v_pk_add_f32 v[28:29], v[28:29], v[36:37]
	v_cmp_gt_u32_e32 vcc, s8, v31
	s_and_saveexec_b64 s[16:17], vcc
	s_cbranch_execz .LBB20_13
; %bb.25:                               ;   in Loop: Header=BB20_15 Depth=2
	v_and_b32_e32 v37, 0xffff0000, v0
	v_lshlrev_b32_e32 v36, 16, v0
	v_and_b32_e32 v39, 0xffff0000, v8
	v_lshlrev_b32_e32 v38, 16, v8
	v_and_b32_e32 v53, 0xffff0000, v12
	v_lshlrev_b32_e32 v52, 16, v12
	v_pk_mul_f32 v[38:39], v[36:37], v[38:39]
	v_and_b32_e32 v41, 0xffff0000, v1
	v_lshlrev_b32_e32 v40, 16, v1
	v_and_b32_e32 v43, 0xffff0000, v9
	v_lshlrev_b32_e32 v42, 16, v9
	v_pk_mul_f32 v[36:37], v[36:37], v[52:53]
	v_and_b32_e32 v53, 0xffff0000, v13
	v_lshlrev_b32_e32 v52, 16, v13
	v_pk_mul_f32 v[42:43], v[40:41], v[42:43]
	v_and_b32_e32 v45, 0xffff0000, v2
	v_lshlrev_b32_e32 v44, 16, v2
	v_and_b32_e32 v47, 0xffff0000, v10
	v_lshlrev_b32_e32 v46, 16, v10
	v_pk_mul_f32 v[40:41], v[40:41], v[52:53]
	v_and_b32_e32 v53, 0xffff0000, v14
	v_lshlrev_b32_e32 v52, 16, v14
	;; [unrolled: 8-line block ×3, first 2 shown]
	v_pk_mul_f32 v[50:51], v[48:49], v[50:51]
	v_pk_mul_f32 v[48:49], v[48:49], v[52:53]
	v_mov_b32_e32 v52, v36
	v_mov_b32_e32 v53, v38
	v_mov_b32_e32 v38, v37
	v_pk_add_f32 v[36:37], v[52:53], v[38:39]
	v_pk_add_f32 v[28:29], v[28:29], v[36:37]
	v_mov_b32_e32 v36, v40
	v_mov_b32_e32 v37, v42
	v_mov_b32_e32 v42, v41
	v_pk_add_f32 v[36:37], v[36:37], v[42:43]
	v_pk_add_f32 v[28:29], v[28:29], v[36:37]
	;; [unrolled: 5-line block ×4, first 2 shown]
	s_branch .LBB20_13
.LBB20_26:                              ;   in Loop: Header=BB20_11 Depth=1
	v_mov_b32_e32 v29, v27
	v_mov_b32_e32 v28, v27
.LBB20_27:                              ;   in Loop: Header=BB20_11 Depth=1
	;;#ASMSTART
	s_nop 0
	v_add_f32 v29, v29, v29 row_shr:8 bound_ctrl:0 
	;;#ASMEND
	;;#ASMSTART
	s_nop 0
	v_add_f32 v28, v28, v28 row_shr:8 bound_ctrl:0 
	;;#ASMEND
	;; [unrolled: 4-line block ×6, first 2 shown]
	;;#ASMSTART
	s_nop 0
	v_add_f32 v29, v29, v29 wave_shr:1 bound_ctrl:0
	;;#ASMEND
	;;#ASMSTART
	s_nop 0
	v_add_f32 v28, v28, v28 wave_shr:1 bound_ctrl:0
	;;#ASMEND
	;;#ASMSTART
	s_nop 0
	v_add_f32 v29, v29, v29 row_bcast:15 bound_ctrl:0
	;;#ASMEND
	;;#ASMSTART
	s_nop 0
	v_add_f32 v28, v28, v28 row_bcast:15 bound_ctrl:0
	;; [unrolled: 4-line block ×4, first 2 shown]
	;;#ASMEND
	s_and_saveexec_b64 s[4:5], s[0:1]
	s_cbranch_execz .LBB20_10
; %bb.28:                               ;   in Loop: Header=BB20_11 Depth=1
	v_and_b32_e32 v25, 0x7f800000, v29
	v_cmp_ne_u32_e32 vcc, s22, v25
                                        ; implicit-def: $vgpr26
	s_and_saveexec_b64 s[16:17], vcc
	s_xor_b64 s[16:17], exec, s[16:17]
; %bb.29:                               ;   in Loop: Header=BB20_11 Depth=1
	v_bfe_u32 v25, v29, 16, 1
	v_add3_u32 v26, v29, v25, s23
; %bb.30:                               ;   in Loop: Header=BB20_11 Depth=1
	s_andn2_saveexec_b64 s[16:17], s[16:17]
; %bb.31:                               ;   in Loop: Header=BB20_11 Depth=1
	v_or_b32_e32 v25, 0x10000, v29
	v_cmp_eq_u32_sdwa vcc, v29, v27 src0_sel:WORD_0 src1_sel:DWORD
	v_cndmask_b32_e32 v26, v25, v29, vcc
; %bb.32:                               ;   in Loop: Header=BB20_11 Depth=1
	s_or_b64 exec, exec, s[16:17]
	v_mov_b32_e32 v25, v27
	v_lshlrev_b64 v[30:31], 1, v[24:25]
	s_waitcnt lgkmcnt(0)
	v_mov_b32_e32 v25, s11
	v_add_co_u32_e32 v30, vcc, s10, v30
	v_addc_co_u32_e32 v31, vcc, v25, v31, vcc
	v_and_b32_e32 v25, 0x7f800000, v28
	v_cmp_ne_u32_e32 vcc, s22, v25
	global_store_short_d16_hi v[30:31], v26, off
                                        ; implicit-def: $vgpr25
	s_and_saveexec_b64 s[16:17], vcc
	s_xor_b64 s[16:17], exec, s[16:17]
; %bb.33:                               ;   in Loop: Header=BB20_11 Depth=1
	v_bfe_u32 v25, v28, 16, 1
	v_add3_u32 v25, v28, v25, s23
                                        ; implicit-def: $vgpr28
; %bb.34:                               ;   in Loop: Header=BB20_11 Depth=1
	s_andn2_saveexec_b64 s[16:17], s[16:17]
	s_cbranch_execz .LBB20_9
; %bb.35:                               ;   in Loop: Header=BB20_11 Depth=1
	v_or_b32_e32 v25, 0x10000, v28
	v_cmp_eq_u32_sdwa vcc, v28, v27 src0_sel:WORD_0 src1_sel:DWORD
	v_cndmask_b32_e32 v25, v25, v28, vcc
	s_branch .LBB20_9
.LBB20_36:
	s_endpgm
	.section	.rodata,"a",@progbits
	.p2align	6, 0x0
	.amdhsa_kernel _Z16wvSplitK_hf_sml_I14__hip_bfloat16Li64ELi2ELi16ELi8ELi2ELi1EEviiPKT_S3_PS1_ii
		.amdhsa_group_segment_fixed_size 65536
		.amdhsa_private_segment_fixed_size 0
		.amdhsa_kernarg_size 40
		.amdhsa_user_sgpr_count 6
		.amdhsa_user_sgpr_private_segment_buffer 1
		.amdhsa_user_sgpr_dispatch_ptr 0
		.amdhsa_user_sgpr_queue_ptr 0
		.amdhsa_user_sgpr_kernarg_segment_ptr 1
		.amdhsa_user_sgpr_dispatch_id 0
		.amdhsa_user_sgpr_flat_scratch_init 0
		.amdhsa_user_sgpr_kernarg_preload_length 0
		.amdhsa_user_sgpr_kernarg_preload_offset 0
		.amdhsa_user_sgpr_private_segment_size 0
		.amdhsa_uses_dynamic_stack 0
		.amdhsa_system_sgpr_private_segment_wavefront_offset 0
		.amdhsa_system_sgpr_workgroup_id_x 1
		.amdhsa_system_sgpr_workgroup_id_y 0
		.amdhsa_system_sgpr_workgroup_id_z 0
		.amdhsa_system_sgpr_workgroup_info 0
		.amdhsa_system_vgpr_workitem_id 1
		.amdhsa_next_free_vgpr 54
		.amdhsa_next_free_sgpr 25
		.amdhsa_accum_offset 56
		.amdhsa_reserve_vcc 1
		.amdhsa_reserve_flat_scratch 0
		.amdhsa_float_round_mode_32 0
		.amdhsa_float_round_mode_16_64 0
		.amdhsa_float_denorm_mode_32 3
		.amdhsa_float_denorm_mode_16_64 3
		.amdhsa_dx10_clamp 1
		.amdhsa_ieee_mode 1
		.amdhsa_fp16_overflow 0
		.amdhsa_tg_split 0
		.amdhsa_exception_fp_ieee_invalid_op 0
		.amdhsa_exception_fp_denorm_src 0
		.amdhsa_exception_fp_ieee_div_zero 0
		.amdhsa_exception_fp_ieee_overflow 0
		.amdhsa_exception_fp_ieee_underflow 0
		.amdhsa_exception_fp_ieee_inexact 0
		.amdhsa_exception_int_div_zero 0
	.end_amdhsa_kernel
	.section	.text._Z16wvSplitK_hf_sml_I14__hip_bfloat16Li64ELi2ELi16ELi8ELi2ELi1EEviiPKT_S3_PS1_ii,"axG",@progbits,_Z16wvSplitK_hf_sml_I14__hip_bfloat16Li64ELi2ELi16ELi8ELi2ELi1EEviiPKT_S3_PS1_ii,comdat
.Lfunc_end20:
	.size	_Z16wvSplitK_hf_sml_I14__hip_bfloat16Li64ELi2ELi16ELi8ELi2ELi1EEviiPKT_S3_PS1_ii, .Lfunc_end20-_Z16wvSplitK_hf_sml_I14__hip_bfloat16Li64ELi2ELi16ELi8ELi2ELi1EEviiPKT_S3_PS1_ii
                                        ; -- End function
	.section	.AMDGPU.csdata,"",@progbits
; Kernel info:
; codeLenInByte = 1820
; NumSgprs: 29
; NumVgprs: 54
; NumAgprs: 0
; TotalNumVgprs: 54
; ScratchSize: 0
; MemoryBound: 0
; FloatMode: 240
; IeeeMode: 1
; LDSByteSize: 65536 bytes/workgroup (compile time only)
; SGPRBlocks: 3
; VGPRBlocks: 6
; NumSGPRsForWavesPerEU: 29
; NumVGPRsForWavesPerEU: 54
; AccumOffset: 56
; Occupancy: 4
; WaveLimiterHint : 0
; COMPUTE_PGM_RSRC2:SCRATCH_EN: 0
; COMPUTE_PGM_RSRC2:USER_SGPR: 6
; COMPUTE_PGM_RSRC2:TRAP_HANDLER: 0
; COMPUTE_PGM_RSRC2:TGID_X_EN: 1
; COMPUTE_PGM_RSRC2:TGID_Y_EN: 0
; COMPUTE_PGM_RSRC2:TGID_Z_EN: 0
; COMPUTE_PGM_RSRC2:TIDIG_COMP_CNT: 1
; COMPUTE_PGM_RSRC3_GFX90A:ACCUM_OFFSET: 13
; COMPUTE_PGM_RSRC3_GFX90A:TG_SPLIT: 0
	.section	.text._Z12wvSplitK_hf_I14__hip_bfloat16Li64ELi2ELi16ELi8ELi2ELi1EEviiPKT_S3_PS1_ii,"axG",@progbits,_Z12wvSplitK_hf_I14__hip_bfloat16Li64ELi2ELi16ELi8ELi2ELi1EEviiPKT_S3_PS1_ii,comdat
	.protected	_Z12wvSplitK_hf_I14__hip_bfloat16Li64ELi2ELi16ELi8ELi2ELi1EEviiPKT_S3_PS1_ii ; -- Begin function _Z12wvSplitK_hf_I14__hip_bfloat16Li64ELi2ELi16ELi8ELi2ELi1EEviiPKT_S3_PS1_ii
	.globl	_Z12wvSplitK_hf_I14__hip_bfloat16Li64ELi2ELi16ELi8ELi2ELi1EEviiPKT_S3_PS1_ii
	.p2align	8
	.type	_Z12wvSplitK_hf_I14__hip_bfloat16Li64ELi2ELi16ELi8ELi2ELi1EEviiPKT_S3_PS1_ii,@function
_Z12wvSplitK_hf_I14__hip_bfloat16Li64ELi2ELi16ELi8ELi2ELi1EEviiPKT_S3_PS1_ii: ; @_Z12wvSplitK_hf_I14__hip_bfloat16Li64ELi2ELi16ELi8ELi2ELi1EEviiPKT_S3_PS1_ii
; %bb.0:
	s_load_dwordx2 s[2:3], s[4:5], 0x20
	s_load_dwordx2 s[8:9], s[4:5], 0x0
	;; [unrolled: 1-line block ×3, first 2 shown]
	v_bfe_u32 v3, v0, 10, 10
	s_waitcnt lgkmcnt(0)
	s_mul_i32 s0, s6, s2
	v_add_lshl_u32 v26, s0, v3, 1
	s_mov_b32 s6, 1
	v_add_u32_e32 v1, 2, v26
	v_cmp_gt_u32_e32 vcc, s9, v26
	v_cmp_le_u32_e64 s[0:1], s9, v1
	s_mov_b32 s7, s6
	s_and_b64 s[12:13], vcc, s[0:1]
	v_pk_mov_b32 v[24:25], s[6:7], s[6:7] op_sel:[0,1]
	s_and_saveexec_b64 s[0:1], s[12:13]
	s_cbranch_execz .LBB21_6
; %bb.1:
	s_add_i32 s18, s9, -2
	v_cmp_ne_u32_e32 vcc, s18, v26
	v_pk_mov_b32 v[24:25], s[6:7], s[6:7] op_sel:[0,1]
	s_and_saveexec_b64 s[6:7], vcc
	s_cbranch_execz .LBB21_5
; %bb.2:
	v_subrev_u32_e32 v1, s18, v26
	s_mov_b32 s12, 1
	v_cmp_lt_u32_e32 vcc, 1, v1
	v_cndmask_b32_e32 v2, 1, v1, vcc
	s_mov_b64 s[14:15], 0
	s_mov_b64 s[16:17], 0
	s_mov_b32 s13, s12
.LBB21_3:                               ; =>This Inner Loop Header: Depth=1
	s_cmp_lg_u32 s16, 1
	s_cselect_b32 s13, s13, 0
	s_cmp_lg_u32 s16, 0
	s_cselect_b32 s12, s12, 0
	s_add_u32 s16, s16, 1
	s_addc_u32 s17, s17, 0
	v_cmp_eq_u32_e32 vcc, s16, v2
	s_or_b64 s[14:15], vcc, s[14:15]
	v_pk_mov_b32 v[24:25], s[12:13], s[12:13] op_sel:[0,1]
	s_andn2_b64 exec, exec, s[14:15]
	s_cbranch_execnz .LBB21_3
; %bb.4:
	s_or_b64 exec, exec, s[14:15]
	v_mov_b32_e32 v26, s18
.LBB21_5:
	s_or_b64 exec, exec, s[6:7]
.LBB21_6:
	s_or_b64 exec, exec, s[0:1]
	v_and_b32_e32 v2, 0x3ff, v0
	s_cmp_lg_u32 s8, 0
	v_lshlrev_b32_e32 v28, 3, v2
	s_mov_b32 s14, 0
	s_cselect_b64 s[16:17], -1, 0
	s_cmp_eq_u32 s8, 0
	v_lshlrev_b32_e32 v29, 4, v2
	s_cbranch_scc1 .LBB21_12
; %bb.7:
	v_lshlrev_b32_e32 v0, 4, v2
	s_min_i32 s15, s8, 0x8000
	v_lshl_add_u32 v4, v3, 10, v0
	v_lshl_add_u32 v5, v3, 9, v28
	s_mov_b64 s[0:1], 0
	v_mov_b32_e32 v1, 0
                                        ; implicit-def: $sgpr6_sgpr7
	s_branch .LBB21_9
.LBB21_8:                               ;   in Loop: Header=BB21_9 Depth=1
	s_or_b64 exec, exec, s[12:13]
	s_and_b64 s[12:13], exec, s[6:7]
	s_or_b64 s[0:1], s[12:13], s[0:1]
	s_andn2_b64 exec, exec, s[0:1]
	s_cbranch_execz .LBB21_11
.LBB21_9:                               ; =>This Inner Loop Header: Depth=1
	v_add_u32_e32 v0, s14, v5
	v_cmp_gt_u32_e32 vcc, s15, v0
	s_or_b64 s[6:7], s[6:7], exec
	s_and_saveexec_b64 s[12:13], vcc
	s_cbranch_execz .LBB21_8
; %bb.10:                               ;   in Loop: Header=BB21_9 Depth=1
	v_lshlrev_b64 v[6:7], 1, v[0:1]
	v_mov_b32_e32 v0, s11
	v_add_co_u32_e32 v6, vcc, s10, v6
	v_addc_co_u32_e32 v7, vcc, v0, v7, vcc
	global_load_dwordx4 v[6:9], v[6:7], off
	s_addk_i32 s14, 0x2000
	s_cmp_ge_u32 s14, s15
	s_cselect_b64 s[18:19], -1, 0
	s_andn2_b64 s[6:7], s[6:7], exec
	s_and_b64 s[18:19], s[18:19], exec
	s_or_b64 s[6:7], s[6:7], s[18:19]
	s_waitcnt vmcnt(0)
	ds_write_b128 v4, v[6:9]
	v_add_u32_e32 v4, 0x4000, v4
	s_branch .LBB21_8
.LBB21_11:
	s_or_b64 exec, exec, s[0:1]
.LBB21_12:
	v_cmp_gt_u32_e32 vcc, s2, v3
	v_cmp_gt_u32_e64 s[0:1], s9, v26
	s_and_b64 s[0:1], vcc, s[0:1]
	s_waitcnt lgkmcnt(0)
	s_barrier
	s_and_saveexec_b64 s[6:7], s[0:1]
	s_cbranch_execz .LBB21_58
; %bb.13:
	s_load_dwordx2 s[6:7], s[4:5], 0x8
	s_load_dwordx2 s[12:13], s[4:5], 0x18
	s_mul_i32 s2, s2, s3
	s_ashr_i32 s5, s8, 31
	s_mov_b32 s4, s8
	v_cndmask_b32_e64 v0, 0, 1, s[16:17]
	v_cmp_eq_u32_e64 s[0:1], 63, v2
	s_lshl_b32 s26, s2, 1
	s_add_i32 s27, s9, -2
	s_mov_b64 s[14:15], 0
	v_cmp_ne_u32_e64 s[2:3], 1, v0
	v_mov_b32_e32 v31, 0
	s_lshl_b64 s[16:17], s[4:5], 1
	s_movk_i32 s28, 0x7fff
	s_mov_b32 s29, 0x7f800000
                                        ; implicit-def: $vgpr4_vgpr5_vgpr6_vgpr7
                                        ; implicit-def: $vgpr16_vgpr17_vgpr18_vgpr19
                                        ; implicit-def: $vgpr0_vgpr1_vgpr2_vgpr3
                                        ; implicit-def: $vgpr8_vgpr9_vgpr10_vgpr11
                                        ; implicit-def: $vgpr15
                                        ; implicit-def: $vgpr23
	s_branch .LBB21_16
.LBB21_14:                              ;   in Loop: Header=BB21_16 Depth=1
	s_or_b64 exec, exec, s[20:21]
	v_mov_b32_e32 v26, s27
.LBB21_15:                              ;   in Loop: Header=BB21_16 Depth=1
	s_or_b64 exec, exec, s[18:19]
	v_cmp_le_u32_e32 vcc, s9, v26
	s_or_b64 s[14:15], vcc, s[14:15]
	s_andn2_b64 exec, exec, s[14:15]
	s_cbranch_execz .LBB21_58
.LBB21_16:                              ; =>This Loop Header: Depth=1
                                        ;     Child Loop BB21_20 Depth 2
                                        ;     Child Loop BB21_56 Depth 2
	s_and_b64 vcc, exec, s[2:3]
	s_cbranch_vccnz .LBB21_39
; %bb.17:                               ;   in Loop: Header=BB21_16 Depth=1
	v_mov_b32_e32 v32, 0
	v_mad_u64_u32 v[34:35], s[4:5], v26, s8, v[28:29]
	s_mov_b32 s24, 0
	v_mov_b32_e32 v27, v29
	v_mov_b32_e32 v33, v32
	s_branch .LBB21_20
.LBB21_18:                              ;   in Loop: Header=BB21_20 Depth=2
	s_or_b64 exec, exec, s[18:19]
.LBB21_19:                              ;   in Loop: Header=BB21_20 Depth=2
	s_or_b64 exec, exec, s[4:5]
	s_addk_i32 s24, 0x400
	s_cmp_ge_u32 s24, s8
	v_add_u32_e32 v27, 0x800, v27
	s_cbranch_scc1 .LBB21_40
.LBB21_20:                              ;   Parent Loop BB21_16 Depth=1
                                        ; =>  This Inner Loop Header: Depth=2
	v_add_u32_e32 v38, s24, v28
	v_cmp_gt_u32_e32 vcc, s8, v38
	v_add_u32_e32 v36, 0x200, v38
	s_and_saveexec_b64 s[18:19], vcc
	s_cbranch_execnz .LBB21_23
; %bb.21:                               ;   in Loop: Header=BB21_20 Depth=2
	s_or_b64 exec, exec, s[18:19]
	s_and_saveexec_b64 s[18:19], vcc
	s_cbranch_execnz .LBB21_26
.LBB21_22:                              ;   in Loop: Header=BB21_20 Depth=2
	s_or_b64 exec, exec, s[18:19]
	s_and_saveexec_b64 s[4:5], vcc
	s_cbranch_execz .LBB21_19
	s_branch .LBB21_37
.LBB21_23:                              ;   in Loop: Header=BB21_20 Depth=2
	v_add_u32_e32 v30, s24, v34
	s_waitcnt vmcnt(1)
	v_lshlrev_b64 v[8:9], 1, v[30:31]
	s_waitcnt lgkmcnt(0)
	v_mov_b32_e32 v10, s7
	v_add_co_u32_e64 v40, s[4:5], s6, v8
	v_addc_co_u32_e64 v41, s[4:5], v10, v9, s[4:5]
	v_mov_b32_e32 v8, s17
	v_add_co_u32_e64 v42, s[4:5], s16, v40
	v_addc_co_u32_e64 v43, s[4:5], v41, v8, s[4:5]
	global_load_dwordx4 v[8:11], v[40:41], off glc slc
	global_load_dwordx4 v[16:19], v[42:43], off glc slc
	v_cmp_gt_u32_e64 s[4:5], s8, v36
	s_and_saveexec_b64 s[20:21], s[4:5]
	s_cbranch_execz .LBB21_25
; %bb.24:                               ;   in Loop: Header=BB21_20 Depth=2
	v_add_u32_e32 v30, 0x200, v30
	v_lshlrev_b64 v[0:1], 1, v[30:31]
	v_mov_b32_e32 v2, s7
	v_add_co_u32_e64 v40, s[4:5], s6, v0
	v_addc_co_u32_e64 v41, s[4:5], v2, v1, s[4:5]
	v_mov_b32_e32 v0, s17
	v_add_co_u32_e64 v42, s[4:5], s16, v40
	v_addc_co_u32_e64 v43, s[4:5], v41, v0, s[4:5]
	global_load_dwordx4 v[0:3], v[40:41], off glc slc
	global_load_dwordx4 v[4:7], v[42:43], off glc slc
.LBB21_25:                              ;   in Loop: Header=BB21_20 Depth=2
	s_or_b64 exec, exec, s[20:21]
	s_or_b64 exec, exec, s[18:19]
	s_and_saveexec_b64 s[18:19], vcc
	s_cbranch_execz .LBB21_22
.LBB21_26:                              ;   in Loop: Header=BB21_20 Depth=2
	v_cmp_lt_u32_e64 s[4:5], s28, v38
                                        ; implicit-def: $vgpr12
	s_and_saveexec_b64 s[20:21], s[4:5]
	s_xor_b64 s[20:21], exec, s[20:21]
	s_cbranch_execnz .LBB21_29
; %bb.27:                               ;   in Loop: Header=BB21_20 Depth=2
	s_andn2_saveexec_b64 s[4:5], s[20:21]
	s_cbranch_execnz .LBB21_30
.LBB21_28:                              ;   in Loop: Header=BB21_20 Depth=2
	s_or_b64 exec, exec, s[4:5]
	v_cmp_gt_u32_e64 s[4:5], s8, v36
	s_and_saveexec_b64 s[20:21], s[4:5]
	s_cbranch_execnz .LBB21_31
	s_branch .LBB21_36
.LBB21_29:                              ;   in Loop: Header=BB21_20 Depth=2
	v_mov_b32_e32 v39, v31
	s_waitcnt vmcnt(0) lgkmcnt(0)
	v_lshlrev_b64 v[12:13], 1, v[38:39]
	v_mov_b32_e32 v14, s11
	v_add_co_u32_e64 v12, s[4:5], s10, v12
	v_addc_co_u32_e64 v13, s[4:5], v14, v13, s[4:5]
	global_load_dwordx4 v[12:15], v[12:13], off
	s_andn2_saveexec_b64 s[4:5], s[20:21]
	s_cbranch_execz .LBB21_28
.LBB21_30:                              ;   in Loop: Header=BB21_20 Depth=2
	s_waitcnt vmcnt(0) lgkmcnt(0)
	ds_read_b128 v[12:15], v27
	s_or_b64 exec, exec, s[4:5]
	v_cmp_gt_u32_e64 s[4:5], s8, v36
	s_and_saveexec_b64 s[20:21], s[4:5]
	s_cbranch_execz .LBB21_36
.LBB21_31:                              ;   in Loop: Header=BB21_20 Depth=2
	v_cmp_lt_u32_e64 s[4:5], s28, v36
                                        ; implicit-def: $vgpr20
	s_and_saveexec_b64 s[22:23], s[4:5]
	s_xor_b64 s[22:23], exec, s[22:23]
	s_cbranch_execz .LBB21_33
; %bb.32:                               ;   in Loop: Header=BB21_20 Depth=2
	v_mov_b32_e32 v37, v31
	s_waitcnt vmcnt(0) lgkmcnt(0)
	v_lshlrev_b64 v[20:21], 1, v[36:37]
	v_mov_b32_e32 v22, s11
	v_add_co_u32_e64 v20, s[4:5], s10, v20
	v_addc_co_u32_e64 v21, s[4:5], v22, v21, s[4:5]
	global_load_dwordx4 v[20:23], v[20:21], off
.LBB21_33:                              ;   in Loop: Header=BB21_20 Depth=2
	s_andn2_saveexec_b64 s[4:5], s[22:23]
	s_cbranch_execz .LBB21_35
; %bb.34:                               ;   in Loop: Header=BB21_20 Depth=2
	s_waitcnt vmcnt(0) lgkmcnt(0)
	ds_read_b128 v[20:23], v27 offset:1024
.LBB21_35:                              ;   in Loop: Header=BB21_20 Depth=2
	s_or_b64 exec, exec, s[4:5]
.LBB21_36:                              ;   in Loop: Header=BB21_20 Depth=2
	s_or_b64 exec, exec, s[20:21]
	s_or_b64 exec, exec, s[18:19]
	s_and_saveexec_b64 s[4:5], vcc
	s_cbranch_execz .LBB21_19
.LBB21_37:                              ;   in Loop: Header=BB21_20 Depth=2
	s_waitcnt vmcnt(0) lgkmcnt(0)
	v_and_b32_e32 v39, 0xffff0000, v12
	v_lshlrev_b32_e32 v38, 16, v12
	v_and_b32_e32 v41, 0xffff0000, v8
	v_lshlrev_b32_e32 v40, 16, v8
	;; [unrolled: 2-line block ×3, first 2 shown]
	v_pk_mul_f32 v[40:41], v[38:39], v[40:41]
	v_and_b32_e32 v43, 0xffff0000, v13
	v_lshlrev_b32_e32 v42, 16, v13
	v_and_b32_e32 v45, 0xffff0000, v9
	v_lshlrev_b32_e32 v44, 16, v9
	v_pk_mul_f32 v[38:39], v[38:39], v[54:55]
	v_and_b32_e32 v55, 0xffff0000, v17
	v_lshlrev_b32_e32 v54, 16, v17
	v_pk_mul_f32 v[44:45], v[42:43], v[44:45]
	v_and_b32_e32 v47, 0xffff0000, v14
	v_lshlrev_b32_e32 v46, 16, v14
	v_and_b32_e32 v49, 0xffff0000, v10
	v_lshlrev_b32_e32 v48, 16, v10
	v_pk_mul_f32 v[42:43], v[42:43], v[54:55]
	v_and_b32_e32 v55, 0xffff0000, v18
	v_lshlrev_b32_e32 v54, 16, v18
	;; [unrolled: 8-line block ×3, first 2 shown]
	v_pk_mul_f32 v[52:53], v[50:51], v[52:53]
	v_pk_mul_f32 v[50:51], v[50:51], v[54:55]
	v_mov_b32_e32 v54, v38
	v_mov_b32_e32 v55, v40
	v_mov_b32_e32 v40, v39
	v_pk_add_f32 v[38:39], v[54:55], v[40:41]
	v_pk_add_f32 v[32:33], v[32:33], v[38:39]
	v_mov_b32_e32 v38, v42
	v_mov_b32_e32 v39, v44
	v_mov_b32_e32 v44, v43
	v_pk_add_f32 v[38:39], v[38:39], v[44:45]
	v_pk_add_f32 v[32:33], v[32:33], v[38:39]
	;; [unrolled: 5-line block ×4, first 2 shown]
	v_cmp_gt_u32_e32 vcc, s8, v36
	s_and_saveexec_b64 s[18:19], vcc
	s_cbranch_execz .LBB21_18
; %bb.38:                               ;   in Loop: Header=BB21_20 Depth=2
	v_and_b32_e32 v37, 0xffff0000, v20
	v_lshlrev_b32_e32 v36, 16, v20
	v_and_b32_e32 v39, 0xffff0000, v0
	v_lshlrev_b32_e32 v38, 16, v0
	;; [unrolled: 2-line block ×3, first 2 shown]
	v_pk_mul_f32 v[38:39], v[36:37], v[38:39]
	v_and_b32_e32 v41, 0xffff0000, v21
	v_lshlrev_b32_e32 v40, 16, v21
	v_and_b32_e32 v43, 0xffff0000, v1
	v_lshlrev_b32_e32 v42, 16, v1
	v_pk_mul_f32 v[36:37], v[36:37], v[52:53]
	v_and_b32_e32 v53, 0xffff0000, v5
	v_lshlrev_b32_e32 v52, 16, v5
	v_pk_mul_f32 v[42:43], v[40:41], v[42:43]
	v_and_b32_e32 v45, 0xffff0000, v22
	v_lshlrev_b32_e32 v44, 16, v22
	v_and_b32_e32 v47, 0xffff0000, v2
	v_lshlrev_b32_e32 v46, 16, v2
	v_pk_mul_f32 v[40:41], v[40:41], v[52:53]
	v_and_b32_e32 v53, 0xffff0000, v6
	v_lshlrev_b32_e32 v52, 16, v6
	;; [unrolled: 8-line block ×3, first 2 shown]
	v_pk_mul_f32 v[50:51], v[48:49], v[50:51]
	v_pk_mul_f32 v[48:49], v[48:49], v[52:53]
	v_mov_b32_e32 v52, v36
	v_mov_b32_e32 v53, v38
	v_mov_b32_e32 v38, v37
	v_pk_add_f32 v[36:37], v[52:53], v[38:39]
	v_pk_add_f32 v[32:33], v[32:33], v[36:37]
	v_mov_b32_e32 v36, v40
	v_mov_b32_e32 v37, v42
	v_mov_b32_e32 v42, v41
	v_pk_add_f32 v[36:37], v[36:37], v[42:43]
	v_pk_add_f32 v[32:33], v[32:33], v[36:37]
	;; [unrolled: 5-line block ×4, first 2 shown]
	s_branch .LBB21_18
.LBB21_39:                              ;   in Loop: Header=BB21_16 Depth=1
	v_mov_b32_e32 v33, v31
	v_mov_b32_e32 v32, v31
.LBB21_40:                              ;   in Loop: Header=BB21_16 Depth=1
	;;#ASMSTART
	s_nop 0
	v_add_f32 v33, v33, v33 row_shr:8 bound_ctrl:0 
	;;#ASMEND
	;;#ASMSTART
	s_nop 0
	v_add_f32 v32, v32, v32 row_shr:8 bound_ctrl:0 
	;;#ASMEND
	;; [unrolled: 4-line block ×6, first 2 shown]
	;;#ASMSTART
	s_nop 0
	v_add_f32 v33, v33, v33 wave_shr:1 bound_ctrl:0
	;;#ASMEND
	;;#ASMSTART
	s_nop 0
	v_add_f32 v32, v32, v32 wave_shr:1 bound_ctrl:0
	;;#ASMEND
	;;#ASMSTART
	s_nop 0
	v_add_f32 v33, v33, v33 row_bcast:15 bound_ctrl:0
	;;#ASMEND
	;;#ASMSTART
	s_nop 0
	v_add_f32 v32, v32, v32 row_bcast:15 bound_ctrl:0
	;; [unrolled: 4-line block ×4, first 2 shown]
	;;#ASMEND
	s_and_saveexec_b64 s[4:5], s[0:1]
	s_cbranch_execz .LBB21_53
; %bb.41:                               ;   in Loop: Header=BB21_16 Depth=1
	v_cmp_ne_u32_e32 vcc, 0, v24
	s_and_saveexec_b64 s[18:19], vcc
	s_cbranch_execz .LBB21_47
; %bb.42:                               ;   in Loop: Header=BB21_16 Depth=1
	v_and_b32_e32 v27, 0x7f800000, v33
	v_cmp_ne_u32_e32 vcc, s29, v27
                                        ; implicit-def: $vgpr30
	s_and_saveexec_b64 s[20:21], vcc
	s_xor_b64 s[20:21], exec, s[20:21]
; %bb.43:                               ;   in Loop: Header=BB21_16 Depth=1
	v_bfe_u32 v27, v33, 16, 1
	v_add3_u32 v30, v33, v27, s28
; %bb.44:                               ;   in Loop: Header=BB21_16 Depth=1
	s_andn2_saveexec_b64 s[20:21], s[20:21]
; %bb.45:                               ;   in Loop: Header=BB21_16 Depth=1
	v_or_b32_e32 v27, 0x10000, v33
	v_cmp_eq_u32_sdwa vcc, v33, v31 src0_sel:WORD_0 src1_sel:DWORD
	v_cndmask_b32_e32 v30, v27, v33, vcc
; %bb.46:                               ;   in Loop: Header=BB21_16 Depth=1
	s_or_b64 exec, exec, s[20:21]
	v_mov_b32_e32 v27, v31
	v_lshlrev_b64 v[34:35], 1, v[26:27]
	s_waitcnt lgkmcnt(0)
	v_mov_b32_e32 v27, s13
	v_add_co_u32_e32 v34, vcc, s12, v34
	v_addc_co_u32_e32 v35, vcc, v27, v35, vcc
	global_store_short_d16_hi v[34:35], v30, off
.LBB21_47:                              ;   in Loop: Header=BB21_16 Depth=1
	s_or_b64 exec, exec, s[18:19]
	v_cmp_ne_u32_e32 vcc, 0, v25
	s_and_b64 exec, exec, vcc
	s_cbranch_execz .LBB21_53
; %bb.48:                               ;   in Loop: Header=BB21_16 Depth=1
	v_and_b32_e32 v27, 0x7f800000, v32
	v_cmp_ne_u32_e32 vcc, s29, v27
                                        ; implicit-def: $vgpr27
	s_and_saveexec_b64 s[18:19], vcc
	s_xor_b64 s[18:19], exec, s[18:19]
; %bb.49:                               ;   in Loop: Header=BB21_16 Depth=1
	v_bfe_u32 v27, v32, 16, 1
	v_add3_u32 v27, v32, v27, s28
                                        ; implicit-def: $vgpr32
; %bb.50:                               ;   in Loop: Header=BB21_16 Depth=1
	s_andn2_saveexec_b64 s[18:19], s[18:19]
; %bb.51:                               ;   in Loop: Header=BB21_16 Depth=1
	v_or_b32_e32 v27, 0x10000, v32
	v_cmp_eq_u32_sdwa vcc, v32, v31 src0_sel:WORD_0 src1_sel:DWORD
	v_cndmask_b32_e32 v27, v27, v32, vcc
; %bb.52:                               ;   in Loop: Header=BB21_16 Depth=1
	s_or_b64 exec, exec, s[18:19]
	v_add_u32_e32 v30, 1, v26
	v_lshlrev_b64 v[32:33], 1, v[30:31]
	s_waitcnt lgkmcnt(0)
	v_mov_b32_e32 v30, s13
	v_add_co_u32_e32 v32, vcc, s12, v32
	v_addc_co_u32_e32 v33, vcc, v30, v33, vcc
	global_store_short_d16_hi v[32:33], v27, off
.LBB21_53:                              ;   in Loop: Header=BB21_16 Depth=1
	s_or_b64 exec, exec, s[4:5]
	v_add_u32_e32 v26, s26, v26
	v_add_u32_e32 v27, 2, v26
	v_cmp_gt_u32_e32 vcc, s9, v26
	v_cmp_le_u32_e64 s[4:5], s9, v27
	s_and_b64 s[4:5], vcc, s[4:5]
	s_and_saveexec_b64 s[18:19], s[4:5]
	s_cbranch_execz .LBB21_15
; %bb.54:                               ;   in Loop: Header=BB21_16 Depth=1
	v_cmp_ne_u32_e32 vcc, s27, v26
	s_and_saveexec_b64 s[20:21], vcc
	s_cbranch_execz .LBB21_14
; %bb.55:                               ;   in Loop: Header=BB21_16 Depth=1
	v_subrev_u32_e32 v26, s27, v26
	v_cmp_lt_u32_e32 vcc, 1, v26
	v_cndmask_b32_e32 v26, 1, v26, vcc
	s_mov_b64 s[22:23], 0
	s_mov_b64 s[24:25], 0
.LBB21_56:                              ;   Parent Loop BB21_16 Depth=1
                                        ; =>  This Inner Loop Header: Depth=2
	s_cmp_lg_u32 s24, 1
	s_cselect_b64 vcc, -1, 0
	s_cmp_lg_u32 s24, 0
	v_cndmask_b32_e32 v25, 0, v25, vcc
	s_cselect_b64 vcc, -1, 0
	s_add_u32 s24, s24, 1
	s_addc_u32 s25, s25, 0
	v_cmp_eq_u32_e64 s[4:5], s24, v26
	s_or_b64 s[22:23], s[4:5], s[22:23]
	v_cndmask_b32_e32 v24, 0, v24, vcc
	s_andn2_b64 exec, exec, s[22:23]
	s_cbranch_execnz .LBB21_56
; %bb.57:                               ;   in Loop: Header=BB21_16 Depth=1
	s_or_b64 exec, exec, s[22:23]
	s_branch .LBB21_14
.LBB21_58:
	s_endpgm
	.section	.rodata,"a",@progbits
	.p2align	6, 0x0
	.amdhsa_kernel _Z12wvSplitK_hf_I14__hip_bfloat16Li64ELi2ELi16ELi8ELi2ELi1EEviiPKT_S3_PS1_ii
		.amdhsa_group_segment_fixed_size 65536
		.amdhsa_private_segment_fixed_size 0
		.amdhsa_kernarg_size 40
		.amdhsa_user_sgpr_count 6
		.amdhsa_user_sgpr_private_segment_buffer 1
		.amdhsa_user_sgpr_dispatch_ptr 0
		.amdhsa_user_sgpr_queue_ptr 0
		.amdhsa_user_sgpr_kernarg_segment_ptr 1
		.amdhsa_user_sgpr_dispatch_id 0
		.amdhsa_user_sgpr_flat_scratch_init 0
		.amdhsa_user_sgpr_kernarg_preload_length 0
		.amdhsa_user_sgpr_kernarg_preload_offset 0
		.amdhsa_user_sgpr_private_segment_size 0
		.amdhsa_uses_dynamic_stack 0
		.amdhsa_system_sgpr_private_segment_wavefront_offset 0
		.amdhsa_system_sgpr_workgroup_id_x 1
		.amdhsa_system_sgpr_workgroup_id_y 0
		.amdhsa_system_sgpr_workgroup_id_z 0
		.amdhsa_system_sgpr_workgroup_info 0
		.amdhsa_system_vgpr_workitem_id 1
		.amdhsa_next_free_vgpr 56
		.amdhsa_next_free_sgpr 30
		.amdhsa_accum_offset 56
		.amdhsa_reserve_vcc 1
		.amdhsa_reserve_flat_scratch 0
		.amdhsa_float_round_mode_32 0
		.amdhsa_float_round_mode_16_64 0
		.amdhsa_float_denorm_mode_32 3
		.amdhsa_float_denorm_mode_16_64 3
		.amdhsa_dx10_clamp 1
		.amdhsa_ieee_mode 1
		.amdhsa_fp16_overflow 0
		.amdhsa_tg_split 0
		.amdhsa_exception_fp_ieee_invalid_op 0
		.amdhsa_exception_fp_denorm_src 0
		.amdhsa_exception_fp_ieee_div_zero 0
		.amdhsa_exception_fp_ieee_overflow 0
		.amdhsa_exception_fp_ieee_underflow 0
		.amdhsa_exception_fp_ieee_inexact 0
		.amdhsa_exception_int_div_zero 0
	.end_amdhsa_kernel
	.section	.text._Z12wvSplitK_hf_I14__hip_bfloat16Li64ELi2ELi16ELi8ELi2ELi1EEviiPKT_S3_PS1_ii,"axG",@progbits,_Z12wvSplitK_hf_I14__hip_bfloat16Li64ELi2ELi16ELi8ELi2ELi1EEviiPKT_S3_PS1_ii,comdat
.Lfunc_end21:
	.size	_Z12wvSplitK_hf_I14__hip_bfloat16Li64ELi2ELi16ELi8ELi2ELi1EEviiPKT_S3_PS1_ii, .Lfunc_end21-_Z12wvSplitK_hf_I14__hip_bfloat16Li64ELi2ELi16ELi8ELi2ELi1EEviiPKT_S3_PS1_ii
                                        ; -- End function
	.section	.AMDGPU.csdata,"",@progbits
; Kernel info:
; codeLenInByte = 2316
; NumSgprs: 34
; NumVgprs: 56
; NumAgprs: 0
; TotalNumVgprs: 56
; ScratchSize: 0
; MemoryBound: 0
; FloatMode: 240
; IeeeMode: 1
; LDSByteSize: 65536 bytes/workgroup (compile time only)
; SGPRBlocks: 4
; VGPRBlocks: 6
; NumSGPRsForWavesPerEU: 34
; NumVGPRsForWavesPerEU: 56
; AccumOffset: 56
; Occupancy: 4
; WaveLimiterHint : 0
; COMPUTE_PGM_RSRC2:SCRATCH_EN: 0
; COMPUTE_PGM_RSRC2:USER_SGPR: 6
; COMPUTE_PGM_RSRC2:TRAP_HANDLER: 0
; COMPUTE_PGM_RSRC2:TGID_X_EN: 1
; COMPUTE_PGM_RSRC2:TGID_Y_EN: 0
; COMPUTE_PGM_RSRC2:TGID_Z_EN: 0
; COMPUTE_PGM_RSRC2:TIDIG_COMP_CNT: 1
; COMPUTE_PGM_RSRC3_GFX90A:ACCUM_OFFSET: 13
; COMPUTE_PGM_RSRC3_GFX90A:TG_SPLIT: 0
	.section	.text._Z16wvSplitK_hf_big_I14__hip_bfloat16Li64ELi2ELi16ELi8ELi2ELi1EEviiPKT_S3_PS1_ii,"axG",@progbits,_Z16wvSplitK_hf_big_I14__hip_bfloat16Li64ELi2ELi16ELi8ELi2ELi1EEviiPKT_S3_PS1_ii,comdat
	.protected	_Z16wvSplitK_hf_big_I14__hip_bfloat16Li64ELi2ELi16ELi8ELi2ELi1EEviiPKT_S3_PS1_ii ; -- Begin function _Z16wvSplitK_hf_big_I14__hip_bfloat16Li64ELi2ELi16ELi8ELi2ELi1EEviiPKT_S3_PS1_ii
	.globl	_Z16wvSplitK_hf_big_I14__hip_bfloat16Li64ELi2ELi16ELi8ELi2ELi1EEviiPKT_S3_PS1_ii
	.p2align	8
	.type	_Z16wvSplitK_hf_big_I14__hip_bfloat16Li64ELi2ELi16ELi8ELi2ELi1EEviiPKT_S3_PS1_ii,@function
_Z16wvSplitK_hf_big_I14__hip_bfloat16Li64ELi2ELi16ELi8ELi2ELi1EEviiPKT_S3_PS1_ii: ; @_Z16wvSplitK_hf_big_I14__hip_bfloat16Li64ELi2ELi16ELi8ELi2ELi1EEviiPKT_S3_PS1_ii
; %bb.0:
	s_load_dwordx2 s[2:3], s[4:5], 0x20
	v_bfe_u32 v1, v0, 10, 10
	s_waitcnt lgkmcnt(0)
	v_cmp_gt_u32_e32 vcc, s2, v1
	s_and_saveexec_b64 s[0:1], vcc
	s_cbranch_execz .LBB22_59
; %bb.1:
	s_load_dwordx2 s[10:11], s[4:5], 0x0
	s_mul_i32 s0, s6, s2
	v_add_lshl_u32 v26, s0, v1, 1
	s_mov_b32 s6, 1
	v_add_u32_e32 v2, 2, v26
	s_waitcnt lgkmcnt(0)
	v_cmp_gt_u32_e32 vcc, s11, v26
	v_cmp_le_u32_e64 s[0:1], s11, v2
	s_mov_b32 s7, s6
	s_and_b64 s[8:9], vcc, s[0:1]
	v_pk_mov_b32 v[24:25], s[6:7], s[6:7] op_sel:[0,1]
	s_and_saveexec_b64 s[0:1], s[8:9]
	s_cbranch_execz .LBB22_7
; %bb.2:
	s_add_i32 s16, s11, -2
	v_cmp_ne_u32_e32 vcc, s16, v26
	v_pk_mov_b32 v[24:25], s[6:7], s[6:7] op_sel:[0,1]
	s_and_saveexec_b64 s[6:7], vcc
	s_cbranch_execz .LBB22_6
; %bb.3:
	v_subrev_u32_e32 v2, s16, v26
	s_mov_b32 s8, 1
	v_cmp_lt_u32_e32 vcc, 1, v2
	v_cndmask_b32_e32 v2, 1, v2, vcc
	s_mov_b64 s[12:13], 0
	s_mov_b64 s[14:15], 0
	s_mov_b32 s9, s8
.LBB22_4:                               ; =>This Inner Loop Header: Depth=1
	s_cmp_lg_u32 s14, 1
	s_cselect_b32 s9, s9, 0
	s_cmp_lg_u32 s14, 0
	s_cselect_b32 s8, s8, 0
	s_add_u32 s14, s14, 1
	s_addc_u32 s15, s15, 0
	v_cmp_eq_u32_e32 vcc, s14, v2
	s_or_b64 s[12:13], vcc, s[12:13]
	v_pk_mov_b32 v[24:25], s[8:9], s[8:9] op_sel:[0,1]
	s_andn2_b64 exec, exec, s[12:13]
	s_cbranch_execnz .LBB22_4
; %bb.5:
	s_or_b64 exec, exec, s[12:13]
	v_mov_b32_e32 v26, s16
.LBB22_6:
	s_or_b64 exec, exec, s[6:7]
.LBB22_7:
	s_or_b64 exec, exec, s[0:1]
	s_lshl_b32 s0, s2, 1
	s_abs_i32 s1, s0
	v_cvt_f32_u32_e32 v2, s1
	s_sub_i32 s8, 0, s1
	s_abs_i32 s7, s11
	s_ashr_i32 s6, s11, 31
	v_rcp_iflag_f32_e32 v2, v2
	v_mul_f32_e32 v2, 0x4f7ffffe, v2
	v_cvt_u32_f32_e32 v2, v2
	v_readfirstlane_b32 s9, v2
	s_mul_i32 s8, s8, s9
	s_mul_hi_u32 s8, s9, s8
	s_add_i32 s9, s9, s8
	s_mul_hi_u32 s8, s7, s9
	s_mul_i32 s8, s8, s1
	s_sub_i32 s7, s7, s8
	s_sub_i32 s8, s7, s1
	s_cmp_ge_u32 s7, s1
	s_cselect_b32 s7, s8, s7
	s_sub_i32 s8, s7, s1
	s_cmp_ge_u32 s7, s1
	s_cselect_b32 s1, s8, s7
	s_xor_b32 s1, s1, s6
	s_sub_i32 s1, s1, s6
	s_add_i32 s0, s0, s11
	s_sub_i32 s0, s0, s1
	s_cmp_eq_u32 s1, 0
	s_cselect_b32 s30, s11, s0
	v_cmp_gt_u32_e32 vcc, s30, v26
	s_and_b64 exec, exec, vcc
	s_cbranch_execz .LBB22_59
; %bb.8:
	s_load_dwordx4 s[12:15], s[4:5], 0x8
	s_load_dwordx2 s[16:17], s[4:5], 0x18
	s_mov_b32 s0, 0
	v_cvt_f64_i32_e32 v[2:3], s10
	s_mov_b32 s1, 0x40e00000
	v_min_f64 v[2:3], v[2:3], s[0:1]
	s_cmp_lg_u32 s10, 0
	v_and_b32_e32 v0, 0x3ff, v0
	s_mul_i32 s0, s3, s2
	v_cvt_u32_f64_e32 v2, v[2:3]
	v_lshlrev_b32_e32 v32, 3, v0
	s_cselect_b64 s[4:5], -1, 0
	s_lshl_b32 s33, s2, 9
	s_lshl_b32 s34, s0, 1
	v_cmp_eq_u32_e64 s[0:1], 63, v0
	s_add_i32 s35, s11, -2
	s_ashr_i32 s7, s10, 31
	v_lshlrev_b32_e32 v0, 4, v0
	s_waitcnt lgkmcnt(0)
	s_add_u32 s36, s16, 2
	v_lshl_add_u32 v33, v1, 10, v0
	v_cndmask_b32_e64 v0, 0, 1, s[4:5]
	v_cmp_ne_u32_e32 vcc, 0, v2
	s_mov_b32 s6, s10
	s_addc_u32 s37, s17, 0
	s_lshl_b32 s38, s2, 10
	v_cmp_ne_u32_e64 s[2:3], 1, v0
	v_cndmask_b32_e64 v0, 0, 1, vcc
	v_readfirstlane_b32 s31, v2
	v_lshl_add_u32 v34, v1, 9, v32
	s_mov_b64 s[18:19], 0
	v_cmp_ne_u32_e64 s[4:5], 1, v0
	v_mov_b32_e32 v29, 0
	s_lshl_b64 s[20:21], s[6:7], 1
	s_mov_b32 s39, 0x7f800000
	s_movk_i32 s40, 0x7fff
                                        ; implicit-def: $vgpr16_vgpr17_vgpr18_vgpr19
                                        ; implicit-def: $vgpr20_vgpr21_vgpr22_vgpr23
                                        ; implicit-def: $vgpr8_vgpr9_vgpr10_vgpr11
                                        ; implicit-def: $vgpr12_vgpr13_vgpr14_vgpr15
                                        ; implicit-def: $vgpr3
                                        ; implicit-def: $vgpr7
	s_branch .LBB22_12
.LBB22_9:                               ;   in Loop: Header=BB22_12 Depth=1
	s_or_b64 exec, exec, s[24:25]
	v_mov_b32_e32 v26, s35
.LBB22_10:                              ;   in Loop: Header=BB22_12 Depth=1
	s_or_b64 exec, exec, s[22:23]
.LBB22_11:                              ;   in Loop: Header=BB22_12 Depth=1
	s_or_b64 exec, exec, s[8:9]
	v_cmp_le_u32_e32 vcc, s30, v26
	s_or_b64 s[18:19], vcc, s[18:19]
	s_andn2_b64 exec, exec, s[18:19]
	s_cbranch_execz .LBB22_59
.LBB22_12:                              ; =>This Loop Header: Depth=1
                                        ;     Child Loop BB22_17 Depth 2
                                        ;       Child Loop BB22_21 Depth 3
                                        ;     Child Loop BB22_57 Depth 2
	s_and_b64 vcc, exec, s[2:3]
	s_cbranch_vccnz .LBB22_37
; %bb.13:                               ;   in Loop: Header=BB22_12 Depth=1
	v_mov_b32_e32 v30, 0
	v_cmp_gt_u32_e64 s[6:7], s11, v26
	v_mul_lo_u32 v27, v26, s10
	s_mov_b32 s28, 0
	s_mov_b32 s29, 0
	v_mov_b32_e32 v31, v30
	s_branch .LBB22_17
.LBB22_14:                              ;   in Loop: Header=BB22_17 Depth=2
	s_or_b64 exec, exec, s[24:25]
.LBB22_15:                              ;   in Loop: Header=BB22_17 Depth=2
	s_or_b64 exec, exec, s[8:9]
.LBB22_16:                              ;   in Loop: Header=BB22_17 Depth=2
	s_or_b64 exec, exec, s[22:23]
	s_addk_i32 s29, 0x400
	s_cmp_ge_u32 s29, s10
	s_cbranch_scc1 .LBB22_38
.LBB22_17:                              ;   Parent Loop BB22_12 Depth=1
                                        ; =>  This Loop Header: Depth=2
                                        ;       Child Loop BB22_21 Depth 3
	s_cmp_eq_u32 s29, 0
	s_cselect_b64 s[8:9], -1, 0
	s_add_i32 s22, s28, s31
	s_cmp_eq_u32 s29, s22
	s_cselect_b64 s[24:25], -1, 0
	s_or_b64 s[24:25], s[8:9], s[24:25]
	s_andn2_b64 vcc, exec, s[24:25]
	s_cbranch_vccnz .LBB22_25
; %bb.18:                               ;   in Loop: Header=BB22_17 Depth=2
	s_and_b64 s[8:9], s[8:9], exec
	s_cselect_b32 s28, s28, s22
	s_and_b64 vcc, exec, s[4:5]
	s_barrier
	s_cbranch_vccnz .LBB22_24
; %bb.19:                               ;   in Loop: Header=BB22_17 Depth=2
	v_add_u32_e32 v35, s28, v34
	s_mov_b32 s26, 0
	s_mov_b64 s[22:23], 0
	v_mov_b32_e32 v36, v33
                                        ; implicit-def: $sgpr24_sgpr25
	s_branch .LBB22_21
.LBB22_20:                              ;   in Loop: Header=BB22_21 Depth=3
	s_or_b64 exec, exec, s[8:9]
	s_and_b64 s[8:9], exec, s[24:25]
	s_or_b64 s[22:23], s[8:9], s[22:23]
	s_andn2_b64 exec, exec, s[22:23]
	s_cbranch_execz .LBB22_23
.LBB22_21:                              ;   Parent Loop BB22_12 Depth=1
                                        ;     Parent Loop BB22_17 Depth=2
                                        ; =>    This Inner Loop Header: Depth=3
	v_add_u32_e32 v37, s26, v34
	v_add_u32_e32 v28, s26, v35
	v_cmp_gt_u32_e32 vcc, s10, v28
	v_cmp_gt_u32_e64 s[8:9], s31, v37
	s_and_b64 s[42:43], vcc, s[8:9]
	s_or_b64 s[24:25], s[24:25], exec
	s_and_saveexec_b64 s[8:9], s[42:43]
	s_cbranch_execz .LBB22_20
; %bb.22:                               ;   in Loop: Header=BB22_21 Depth=3
	v_lshlrev_b64 v[38:39], 1, v[28:29]
	v_mov_b32_e32 v28, s15
	v_add_co_u32_e32 v38, vcc, s14, v38
	v_addc_co_u32_e32 v39, vcc, v28, v39, vcc
	global_load_dwordx4 v[38:41], v[38:39], off
	s_add_i32 s26, s26, s33
	s_cmp_ge_u32 s26, s31
	s_cselect_b64 s[42:43], -1, 0
	s_andn2_b64 s[24:25], s[24:25], exec
	s_and_b64 s[42:43], s[42:43], exec
	s_or_b64 s[24:25], s[24:25], s[42:43]
	s_waitcnt vmcnt(0)
	ds_write_b128 v36, v[38:41]
	v_add_u32_e32 v36, s38, v36
	s_branch .LBB22_20
.LBB22_23:                              ;   in Loop: Header=BB22_17 Depth=2
	s_or_b64 exec, exec, s[22:23]
.LBB22_24:                              ;   in Loop: Header=BB22_17 Depth=2
	s_waitcnt lgkmcnt(0)
	s_barrier
.LBB22_25:                              ;   in Loop: Header=BB22_17 Depth=2
	s_and_saveexec_b64 s[22:23], s[6:7]
	s_cbranch_execz .LBB22_16
; %bb.26:                               ;   in Loop: Header=BB22_17 Depth=2
	v_add_u32_e32 v35, s29, v32
	v_cmp_gt_u32_e32 vcc, s10, v35
	s_and_saveexec_b64 s[24:25], vcc
	s_cbranch_execnz .LBB22_29
; %bb.27:                               ;   in Loop: Header=BB22_17 Depth=2
	s_or_b64 exec, exec, s[24:25]
	s_and_saveexec_b64 s[24:25], vcc
	s_cbranch_execnz .LBB22_32
.LBB22_28:                              ;   in Loop: Header=BB22_17 Depth=2
	s_or_b64 exec, exec, s[24:25]
	s_and_saveexec_b64 s[8:9], vcc
	s_cbranch_execz .LBB22_15
	s_branch .LBB22_35
.LBB22_29:                              ;   in Loop: Header=BB22_17 Depth=2
	v_add_u32_e32 v28, v35, v27
	s_waitcnt vmcnt(1)
	v_lshlrev_b64 v[12:13], 1, v[28:29]
	v_mov_b32_e32 v14, s13
	v_add_co_u32_e64 v36, s[8:9], s12, v12
	v_addc_co_u32_e64 v37, s[8:9], v14, v13, s[8:9]
	v_mov_b32_e32 v12, s21
	v_add_co_u32_e64 v38, s[8:9], s20, v36
	v_addc_co_u32_e64 v39, s[8:9], v37, v12, s[8:9]
	global_load_dwordx4 v[12:15], v[36:37], off glc slc
	global_load_dwordx4 v[20:23], v[38:39], off glc slc
	v_add_u32_e32 v28, 0x200, v35
	v_cmp_gt_u32_e64 s[8:9], s10, v28
	s_and_saveexec_b64 s[26:27], s[8:9]
	s_cbranch_execz .LBB22_31
; %bb.30:                               ;   in Loop: Header=BB22_17 Depth=2
	v_add_u32_e32 v28, v28, v27
	v_lshlrev_b64 v[8:9], 1, v[28:29]
	v_mov_b32_e32 v10, s13
	v_add_co_u32_e64 v36, s[8:9], s12, v8
	v_addc_co_u32_e64 v37, s[8:9], v10, v9, s[8:9]
	v_mov_b32_e32 v8, s21
	v_add_co_u32_e64 v38, s[8:9], s20, v36
	v_addc_co_u32_e64 v39, s[8:9], v37, v8, s[8:9]
	global_load_dwordx4 v[8:11], v[36:37], off glc slc
	global_load_dwordx4 v[16:19], v[38:39], off glc slc
.LBB22_31:                              ;   in Loop: Header=BB22_17 Depth=2
	s_or_b64 exec, exec, s[26:27]
	s_or_b64 exec, exec, s[24:25]
	s_and_saveexec_b64 s[24:25], vcc
	s_cbranch_execz .LBB22_28
.LBB22_32:                              ;   in Loop: Header=BB22_17 Depth=2
	s_waitcnt lgkmcnt(0)
	v_subrev_u32_e32 v4, s28, v35
	v_lshlrev_b32_e32 v28, 1, v4
	ds_read_b128 v[4:7], v28
	v_add_u32_e32 v36, 0x200, v35
	v_cmp_gt_u32_e64 s[8:9], s10, v36
	s_and_saveexec_b64 s[26:27], s[8:9]
	s_cbranch_execz .LBB22_34
; %bb.33:                               ;   in Loop: Header=BB22_17 Depth=2
	ds_read_b128 v[0:3], v28 offset:1024
.LBB22_34:                              ;   in Loop: Header=BB22_17 Depth=2
	s_or_b64 exec, exec, s[26:27]
	s_or_b64 exec, exec, s[24:25]
	s_and_saveexec_b64 s[8:9], vcc
	s_cbranch_execz .LBB22_15
.LBB22_35:                              ;   in Loop: Header=BB22_17 Depth=2
	s_waitcnt lgkmcnt(0)
	v_and_b32_e32 v37, 0xffff0000, v4
	v_lshlrev_b32_e32 v36, 16, v4
	s_waitcnt vmcnt(1)
	v_and_b32_e32 v39, 0xffff0000, v12
	v_lshlrev_b32_e32 v38, 16, v12
	s_waitcnt vmcnt(0)
	v_and_b32_e32 v53, 0xffff0000, v20
	v_lshlrev_b32_e32 v52, 16, v20
	v_pk_mul_f32 v[38:39], v[36:37], v[38:39]
	v_and_b32_e32 v41, 0xffff0000, v5
	v_lshlrev_b32_e32 v40, 16, v5
	v_and_b32_e32 v43, 0xffff0000, v13
	v_lshlrev_b32_e32 v42, 16, v13
	v_pk_mul_f32 v[36:37], v[36:37], v[52:53]
	v_and_b32_e32 v53, 0xffff0000, v21
	v_lshlrev_b32_e32 v52, 16, v21
	v_pk_mul_f32 v[42:43], v[40:41], v[42:43]
	v_and_b32_e32 v45, 0xffff0000, v6
	v_lshlrev_b32_e32 v44, 16, v6
	v_and_b32_e32 v47, 0xffff0000, v14
	v_lshlrev_b32_e32 v46, 16, v14
	v_pk_mul_f32 v[40:41], v[40:41], v[52:53]
	;; [unrolled: 8-line block ×3, first 2 shown]
	v_and_b32_e32 v53, 0xffff0000, v23
	v_lshlrev_b32_e32 v52, 16, v23
	v_pk_mul_f32 v[50:51], v[48:49], v[50:51]
	v_pk_mul_f32 v[48:49], v[48:49], v[52:53]
	v_mov_b32_e32 v52, v36
	v_mov_b32_e32 v53, v38
	v_mov_b32_e32 v38, v37
	v_pk_add_f32 v[36:37], v[52:53], v[38:39]
	v_pk_add_f32 v[30:31], v[30:31], v[36:37]
	v_mov_b32_e32 v36, v40
	v_mov_b32_e32 v37, v42
	v_mov_b32_e32 v42, v41
	v_pk_add_f32 v[36:37], v[36:37], v[42:43]
	v_pk_add_f32 v[30:31], v[30:31], v[36:37]
	v_mov_b32_e32 v36, v44
	v_mov_b32_e32 v37, v46
	v_mov_b32_e32 v46, v45
	v_pk_add_f32 v[36:37], v[36:37], v[46:47]
	v_pk_add_f32 v[30:31], v[30:31], v[36:37]
	v_mov_b32_e32 v36, v48
	v_mov_b32_e32 v37, v50
	;; [unrolled: 1-line block ×3, first 2 shown]
	v_pk_add_f32 v[36:37], v[36:37], v[50:51]
	v_add_u32_e32 v28, 0x200, v35
	v_pk_add_f32 v[30:31], v[30:31], v[36:37]
	v_cmp_gt_u32_e32 vcc, s10, v28
	s_and_saveexec_b64 s[24:25], vcc
	s_cbranch_execz .LBB22_14
; %bb.36:                               ;   in Loop: Header=BB22_17 Depth=2
	v_and_b32_e32 v37, 0xffff0000, v0
	v_lshlrev_b32_e32 v36, 16, v0
	v_and_b32_e32 v39, 0xffff0000, v8
	v_lshlrev_b32_e32 v38, 16, v8
	;; [unrolled: 2-line block ×3, first 2 shown]
	v_pk_mul_f32 v[38:39], v[36:37], v[38:39]
	v_and_b32_e32 v41, 0xffff0000, v1
	v_lshlrev_b32_e32 v40, 16, v1
	v_and_b32_e32 v43, 0xffff0000, v9
	v_lshlrev_b32_e32 v42, 16, v9
	v_pk_mul_f32 v[36:37], v[36:37], v[52:53]
	v_and_b32_e32 v53, 0xffff0000, v17
	v_lshlrev_b32_e32 v52, 16, v17
	v_pk_mul_f32 v[42:43], v[40:41], v[42:43]
	v_and_b32_e32 v45, 0xffff0000, v2
	v_lshlrev_b32_e32 v44, 16, v2
	v_and_b32_e32 v47, 0xffff0000, v10
	v_lshlrev_b32_e32 v46, 16, v10
	v_pk_mul_f32 v[40:41], v[40:41], v[52:53]
	v_and_b32_e32 v53, 0xffff0000, v18
	v_lshlrev_b32_e32 v52, 16, v18
	;; [unrolled: 8-line block ×3, first 2 shown]
	v_pk_mul_f32 v[50:51], v[48:49], v[50:51]
	v_pk_mul_f32 v[48:49], v[48:49], v[52:53]
	v_mov_b32_e32 v52, v36
	v_mov_b32_e32 v53, v38
	v_mov_b32_e32 v38, v37
	v_pk_add_f32 v[36:37], v[52:53], v[38:39]
	v_pk_add_f32 v[30:31], v[30:31], v[36:37]
	v_mov_b32_e32 v36, v40
	v_mov_b32_e32 v37, v42
	v_mov_b32_e32 v42, v41
	v_pk_add_f32 v[36:37], v[36:37], v[42:43]
	v_pk_add_f32 v[30:31], v[30:31], v[36:37]
	;; [unrolled: 5-line block ×4, first 2 shown]
	s_branch .LBB22_14
.LBB22_37:                              ;   in Loop: Header=BB22_12 Depth=1
	v_mov_b32_e32 v31, v29
	v_mov_b32_e32 v30, v29
.LBB22_38:                              ;   in Loop: Header=BB22_12 Depth=1
	v_cmp_le_u32_e32 vcc, s11, v26
	s_and_saveexec_b64 s[6:7], vcc
	s_xor_b64 s[6:7], exec, s[6:7]
; %bb.39:                               ;   in Loop: Header=BB22_12 Depth=1
	v_add_u32_e32 v26, s34, v26
                                        ; implicit-def: $vgpr31
; %bb.40:                               ;   in Loop: Header=BB22_12 Depth=1
	s_andn2_saveexec_b64 s[8:9], s[6:7]
	s_cbranch_execz .LBB22_11
; %bb.41:                               ;   in Loop: Header=BB22_12 Depth=1
	;;#ASMSTART
	s_nop 0
	v_add_f32 v31, v31, v31 row_shr:8 bound_ctrl:0 
	;;#ASMEND
	;;#ASMSTART
	s_nop 0
	v_add_f32 v30, v30, v30 row_shr:8 bound_ctrl:0 
	;;#ASMEND
	;; [unrolled: 4-line block ×6, first 2 shown]
	;;#ASMSTART
	s_nop 0
	v_add_f32 v31, v31, v31 wave_shr:1 bound_ctrl:0
	;;#ASMEND
	;;#ASMSTART
	s_nop 0
	v_add_f32 v30, v30, v30 wave_shr:1 bound_ctrl:0
	;;#ASMEND
	;;#ASMSTART
	s_nop 0
	v_add_f32 v31, v31, v31 row_bcast:15 bound_ctrl:0
	;;#ASMEND
	;;#ASMSTART
	s_nop 0
	v_add_f32 v30, v30, v30 row_bcast:15 bound_ctrl:0
	;; [unrolled: 4-line block ×4, first 2 shown]
	;;#ASMEND
	s_and_saveexec_b64 s[6:7], s[0:1]
	s_cbranch_execz .LBB22_54
; %bb.42:                               ;   in Loop: Header=BB22_12 Depth=1
	v_cmp_ne_u32_e32 vcc, 0, v24
	s_and_saveexec_b64 s[22:23], vcc
	s_cbranch_execz .LBB22_48
; %bb.43:                               ;   in Loop: Header=BB22_12 Depth=1
	v_and_b32_e32 v27, 0x7f800000, v31
	v_cmp_ne_u32_e32 vcc, s39, v27
                                        ; implicit-def: $vgpr28
	s_and_saveexec_b64 s[24:25], vcc
	s_xor_b64 s[24:25], exec, s[24:25]
; %bb.44:                               ;   in Loop: Header=BB22_12 Depth=1
	v_bfe_u32 v27, v31, 16, 1
	v_add3_u32 v28, v31, v27, s40
; %bb.45:                               ;   in Loop: Header=BB22_12 Depth=1
	s_andn2_saveexec_b64 s[24:25], s[24:25]
; %bb.46:                               ;   in Loop: Header=BB22_12 Depth=1
	v_or_b32_e32 v27, 0x10000, v31
	v_cmp_eq_u32_sdwa vcc, v31, v29 src0_sel:WORD_0 src1_sel:DWORD
	v_cndmask_b32_e32 v28, v27, v31, vcc
; %bb.47:                               ;   in Loop: Header=BB22_12 Depth=1
	s_or_b64 exec, exec, s[24:25]
	v_mov_b32_e32 v27, v29
	v_lshlrev_b64 v[36:37], 1, v[26:27]
	v_mov_b32_e32 v27, s17
	v_add_co_u32_e32 v36, vcc, s16, v36
	v_addc_co_u32_e32 v37, vcc, v27, v37, vcc
	global_store_short_d16_hi v[36:37], v28, off
.LBB22_48:                              ;   in Loop: Header=BB22_12 Depth=1
	s_or_b64 exec, exec, s[22:23]
	v_cmp_ne_u32_e32 vcc, 0, v25
	s_and_b64 exec, exec, vcc
	s_cbranch_execz .LBB22_54
; %bb.49:                               ;   in Loop: Header=BB22_12 Depth=1
	v_and_b32_e32 v27, 0x7f800000, v30
	v_cmp_ne_u32_e32 vcc, s39, v27
                                        ; implicit-def: $vgpr28
	s_and_saveexec_b64 s[22:23], vcc
	s_xor_b64 s[22:23], exec, s[22:23]
; %bb.50:                               ;   in Loop: Header=BB22_12 Depth=1
	v_bfe_u32 v27, v30, 16, 1
	v_add3_u32 v28, v30, v27, s40
                                        ; implicit-def: $vgpr30
; %bb.51:                               ;   in Loop: Header=BB22_12 Depth=1
	s_andn2_saveexec_b64 s[22:23], s[22:23]
; %bb.52:                               ;   in Loop: Header=BB22_12 Depth=1
	v_or_b32_e32 v27, 0x10000, v30
	v_cmp_eq_u32_sdwa vcc, v30, v29 src0_sel:WORD_0 src1_sel:DWORD
	v_cndmask_b32_e32 v28, v27, v30, vcc
; %bb.53:                               ;   in Loop: Header=BB22_12 Depth=1
	s_or_b64 exec, exec, s[22:23]
	v_mov_b32_e32 v27, v29
	v_lshlrev_b64 v[30:31], 1, v[26:27]
	v_mov_b32_e32 v27, s37
	v_add_co_u32_e32 v30, vcc, s36, v30
	v_addc_co_u32_e32 v31, vcc, v27, v31, vcc
	global_store_short_d16_hi v[30:31], v28, off
.LBB22_54:                              ;   in Loop: Header=BB22_12 Depth=1
	s_or_b64 exec, exec, s[6:7]
	v_add_u32_e32 v26, s34, v26
	v_add_u32_e32 v27, 2, v26
	v_cmp_gt_u32_e32 vcc, s11, v26
	v_cmp_le_u32_e64 s[6:7], s11, v27
	s_and_b64 s[6:7], vcc, s[6:7]
	s_and_saveexec_b64 s[22:23], s[6:7]
	s_cbranch_execz .LBB22_10
; %bb.55:                               ;   in Loop: Header=BB22_12 Depth=1
	v_cmp_ne_u32_e32 vcc, s35, v26
	s_and_saveexec_b64 s[24:25], vcc
	s_cbranch_execz .LBB22_9
; %bb.56:                               ;   in Loop: Header=BB22_12 Depth=1
	v_subrev_u32_e32 v26, s35, v26
	v_cmp_lt_u32_e32 vcc, 1, v26
	v_cndmask_b32_e32 v26, 1, v26, vcc
	s_mov_b64 s[26:27], 0
	s_mov_b64 s[28:29], 0
.LBB22_57:                              ;   Parent Loop BB22_12 Depth=1
                                        ; =>  This Inner Loop Header: Depth=2
	s_cmp_lg_u32 s28, 1
	s_cselect_b64 vcc, -1, 0
	s_cmp_lg_u32 s28, 0
	v_cndmask_b32_e32 v25, 0, v25, vcc
	s_cselect_b64 vcc, -1, 0
	s_add_u32 s28, s28, 1
	s_addc_u32 s29, s29, 0
	v_cmp_eq_u32_e64 s[6:7], s28, v26
	s_or_b64 s[26:27], s[6:7], s[26:27]
	v_cndmask_b32_e32 v24, 0, v24, vcc
	s_andn2_b64 exec, exec, s[26:27]
	s_cbranch_execnz .LBB22_57
; %bb.58:                               ;   in Loop: Header=BB22_12 Depth=1
	s_or_b64 exec, exec, s[26:27]
	s_branch .LBB22_9
.LBB22_59:
	s_endpgm
	.section	.rodata,"a",@progbits
	.p2align	6, 0x0
	.amdhsa_kernel _Z16wvSplitK_hf_big_I14__hip_bfloat16Li64ELi2ELi16ELi8ELi2ELi1EEviiPKT_S3_PS1_ii
		.amdhsa_group_segment_fixed_size 65536
		.amdhsa_private_segment_fixed_size 0
		.amdhsa_kernarg_size 40
		.amdhsa_user_sgpr_count 6
		.amdhsa_user_sgpr_private_segment_buffer 1
		.amdhsa_user_sgpr_dispatch_ptr 0
		.amdhsa_user_sgpr_queue_ptr 0
		.amdhsa_user_sgpr_kernarg_segment_ptr 1
		.amdhsa_user_sgpr_dispatch_id 0
		.amdhsa_user_sgpr_flat_scratch_init 0
		.amdhsa_user_sgpr_kernarg_preload_length 0
		.amdhsa_user_sgpr_kernarg_preload_offset 0
		.amdhsa_user_sgpr_private_segment_size 0
		.amdhsa_uses_dynamic_stack 0
		.amdhsa_system_sgpr_private_segment_wavefront_offset 0
		.amdhsa_system_sgpr_workgroup_id_x 1
		.amdhsa_system_sgpr_workgroup_id_y 0
		.amdhsa_system_sgpr_workgroup_id_z 0
		.amdhsa_system_sgpr_workgroup_info 0
		.amdhsa_system_vgpr_workitem_id 1
		.amdhsa_next_free_vgpr 54
		.amdhsa_next_free_sgpr 44
		.amdhsa_accum_offset 56
		.amdhsa_reserve_vcc 1
		.amdhsa_reserve_flat_scratch 0
		.amdhsa_float_round_mode_32 0
		.amdhsa_float_round_mode_16_64 0
		.amdhsa_float_denorm_mode_32 3
		.amdhsa_float_denorm_mode_16_64 3
		.amdhsa_dx10_clamp 1
		.amdhsa_ieee_mode 1
		.amdhsa_fp16_overflow 0
		.amdhsa_tg_split 0
		.amdhsa_exception_fp_ieee_invalid_op 0
		.amdhsa_exception_fp_denorm_src 0
		.amdhsa_exception_fp_ieee_div_zero 0
		.amdhsa_exception_fp_ieee_overflow 0
		.amdhsa_exception_fp_ieee_underflow 0
		.amdhsa_exception_fp_ieee_inexact 0
		.amdhsa_exception_int_div_zero 0
	.end_amdhsa_kernel
	.section	.text._Z16wvSplitK_hf_big_I14__hip_bfloat16Li64ELi2ELi16ELi8ELi2ELi1EEviiPKT_S3_PS1_ii,"axG",@progbits,_Z16wvSplitK_hf_big_I14__hip_bfloat16Li64ELi2ELi16ELi8ELi2ELi1EEviiPKT_S3_PS1_ii,comdat
.Lfunc_end22:
	.size	_Z16wvSplitK_hf_big_I14__hip_bfloat16Li64ELi2ELi16ELi8ELi2ELi1EEviiPKT_S3_PS1_ii, .Lfunc_end22-_Z16wvSplitK_hf_big_I14__hip_bfloat16Li64ELi2ELi16ELi8ELi2ELi1EEviiPKT_S3_PS1_ii
                                        ; -- End function
	.section	.AMDGPU.csdata,"",@progbits
; Kernel info:
; codeLenInByte = 2416
; NumSgprs: 48
; NumVgprs: 54
; NumAgprs: 0
; TotalNumVgprs: 54
; ScratchSize: 0
; MemoryBound: 0
; FloatMode: 240
; IeeeMode: 1
; LDSByteSize: 65536 bytes/workgroup (compile time only)
; SGPRBlocks: 5
; VGPRBlocks: 6
; NumSGPRsForWavesPerEU: 48
; NumVGPRsForWavesPerEU: 54
; AccumOffset: 56
; Occupancy: 4
; WaveLimiterHint : 0
; COMPUTE_PGM_RSRC2:SCRATCH_EN: 0
; COMPUTE_PGM_RSRC2:USER_SGPR: 6
; COMPUTE_PGM_RSRC2:TRAP_HANDLER: 0
; COMPUTE_PGM_RSRC2:TGID_X_EN: 1
; COMPUTE_PGM_RSRC2:TGID_Y_EN: 0
; COMPUTE_PGM_RSRC2:TGID_Z_EN: 0
; COMPUTE_PGM_RSRC2:TIDIG_COMP_CNT: 1
; COMPUTE_PGM_RSRC3_GFX90A:ACCUM_OFFSET: 13
; COMPUTE_PGM_RSRC3_GFX90A:TG_SPLIT: 0
	.section	.text._Z16wvSplitK_hf_sml_I14__hip_bfloat16Li64ELi2ELi16ELi8ELi2ELi2EEviiPKT_S3_PS1_ii,"axG",@progbits,_Z16wvSplitK_hf_sml_I14__hip_bfloat16Li64ELi2ELi16ELi8ELi2ELi2EEviiPKT_S3_PS1_ii,comdat
	.protected	_Z16wvSplitK_hf_sml_I14__hip_bfloat16Li64ELi2ELi16ELi8ELi2ELi2EEviiPKT_S3_PS1_ii ; -- Begin function _Z16wvSplitK_hf_sml_I14__hip_bfloat16Li64ELi2ELi16ELi8ELi2ELi2EEviiPKT_S3_PS1_ii
	.globl	_Z16wvSplitK_hf_sml_I14__hip_bfloat16Li64ELi2ELi16ELi8ELi2ELi2EEviiPKT_S3_PS1_ii
	.p2align	8
	.type	_Z16wvSplitK_hf_sml_I14__hip_bfloat16Li64ELi2ELi16ELi8ELi2ELi2EEviiPKT_S3_PS1_ii,@function
_Z16wvSplitK_hf_sml_I14__hip_bfloat16Li64ELi2ELi16ELi8ELi2ELi2EEviiPKT_S3_PS1_ii: ; @_Z16wvSplitK_hf_sml_I14__hip_bfloat16Li64ELi2ELi16ELi8ELi2ELi2EEviiPKT_S3_PS1_ii
; %bb.0:
	s_load_dwordx2 s[8:9], s[4:5], 0x0
	v_and_b32_e32 v2, 0x3ff, v0
	v_bfe_u32 v3, v0, 10, 10
	v_lshlrev_b32_e32 v42, 3, v2
	s_mov_b32 s7, 0
	s_waitcnt lgkmcnt(0)
	s_lshl_b32 s20, s8, 1
	s_cmp_lg_u32 s8, 0
	s_cselect_b64 s[2:3], -1, 0
	s_cmp_eq_u32 s8, 0
	s_cbranch_scc1 .LBB23_6
; %bb.1:
	s_load_dwordx2 s[0:1], s[4:5], 0x10
	v_lshlrev_b32_e32 v0, 4, v2
	s_min_i32 s16, s20, 0x8000
	v_lshl_add_u32 v4, v3, 10, v0
	v_lshl_add_u32 v5, v3, 9, v42
	s_mov_b64 s[10:11], 0
	v_mov_b32_e32 v1, 0
                                        ; implicit-def: $sgpr12_sgpr13
	s_branch .LBB23_3
.LBB23_2:                               ;   in Loop: Header=BB23_3 Depth=1
	s_or_b64 exec, exec, s[14:15]
	s_and_b64 s[14:15], exec, s[12:13]
	s_or_b64 s[10:11], s[14:15], s[10:11]
	s_andn2_b64 exec, exec, s[10:11]
	s_cbranch_execz .LBB23_5
.LBB23_3:                               ; =>This Inner Loop Header: Depth=1
	v_add_u32_e32 v0, s7, v5
	v_cmp_gt_u32_e32 vcc, s16, v0
	s_or_b64 s[12:13], s[12:13], exec
	s_and_saveexec_b64 s[14:15], vcc
	s_cbranch_execz .LBB23_2
; %bb.4:                                ;   in Loop: Header=BB23_3 Depth=1
	v_lshlrev_b64 v[6:7], 1, v[0:1]
	s_waitcnt lgkmcnt(0)
	v_mov_b32_e32 v0, s1
	v_add_co_u32_e32 v6, vcc, s0, v6
	v_addc_co_u32_e32 v7, vcc, v0, v7, vcc
	global_load_dwordx4 v[6:9], v[6:7], off
	s_addk_i32 s7, 0x2000
	s_cmp_ge_u32 s7, s16
	s_cselect_b64 s[18:19], -1, 0
	s_andn2_b64 s[12:13], s[12:13], exec
	s_and_b64 s[18:19], s[18:19], exec
	s_or_b64 s[12:13], s[12:13], s[18:19]
	s_waitcnt vmcnt(0)
	ds_write_b128 v4, v[6:9]
	v_add_u32_e32 v4, 0x4000, v4
	s_branch .LBB23_2
.LBB23_5:
	s_or_b64 exec, exec, s[10:11]
.LBB23_6:
	s_waitcnt lgkmcnt(0)
	s_load_dwordx2 s[0:1], s[4:5], 0x20
	s_waitcnt lgkmcnt(0)
	s_barrier
	v_cmp_gt_u32_e32 vcc, s0, v3
	s_and_saveexec_b64 s[10:11], vcc
	s_cbranch_execz .LBB23_44
; %bb.7:
	s_mul_i32 s6, s6, s0
	v_add_u32_e32 v0, s6, v3
	v_lshlrev_b32_e32 v32, 1, v0
	v_cmp_gt_u32_e32 vcc, s9, v32
	s_and_b64 exec, exec, vcc
	s_cbranch_execz .LBB23_44
; %bb.8:
	s_load_dwordx2 s[6:7], s[4:5], 0x8
	s_load_dwordx2 s[10:11], s[4:5], 0x18
	s_mul_i32 s12, s0, s1
	v_mul_lo_u32 v0, s8, v0
	s_lshl_b32 s21, s12, 1
	s_ashr_i32 s5, s8, 31
	s_mov_b32 s4, s8
	v_lshl_add_u32 v44, v0, 1, v42
	s_mul_i32 s12, s12, s8
	v_cndmask_b32_e64 v0, 0, 1, s[2:3]
	v_cmp_eq_u32_e64 s[0:1], 63, v2
	v_lshlrev_b32_e32 v43, 4, v2
	s_lshl_b32 s22, s12, 1
	s_mov_b64 s[12:13], 0
	v_cmp_ne_u32_e64 s[2:3], 1, v0
	v_mov_b32_e32 v35, 0
	s_lshl_b64 s[14:15], s[4:5], 1
	s_mov_b32 s23, 0x7f800000
	s_movk_i32 s24, 0x7fff
                                        ; implicit-def: $vgpr16_vgpr17_vgpr18_vgpr19
                                        ; implicit-def: $vgpr28_vgpr29_vgpr30_vgpr31
                                        ; implicit-def: $vgpr12_vgpr13_vgpr14_vgpr15
                                        ; implicit-def: $vgpr20_vgpr21_vgpr22_vgpr23
                                        ; implicit-def: $vgpr7
                                        ; implicit-def: $vgpr3
                                        ; implicit-def: $vgpr11
                                        ; implicit-def: $vgpr27
	s_branch .LBB23_11
.LBB23_9:                               ;   in Loop: Header=BB23_11 Depth=1
	s_or_b64 exec, exec, s[16:17]
	v_add_u32_e32 v34, 1, v34
	v_lshlrev_b64 v[36:37], 1, v[34:35]
	v_mov_b32_e32 v34, s11
	v_add_co_u32_e32 v36, vcc, s10, v36
	v_addc_co_u32_e32 v37, vcc, v34, v37, vcc
	global_store_short_d16_hi v[36:37], v33, off
.LBB23_10:                              ;   in Loop: Header=BB23_11 Depth=1
	s_or_b64 exec, exec, s[4:5]
	v_add_u32_e32 v32, s21, v32
	v_cmp_le_u32_e32 vcc, s9, v32
	s_or_b64 s[12:13], vcc, s[12:13]
	v_add_u32_e32 v44, s22, v44
	s_andn2_b64 exec, exec, s[12:13]
	s_cbranch_execz .LBB23_44
.LBB23_11:                              ; =>This Loop Header: Depth=1
                                        ;     Child Loop BB23_15 Depth 2
	s_and_b64 vcc, exec, s[2:3]
	s_cbranch_vccnz .LBB23_26
; %bb.12:                               ;   in Loop: Header=BB23_11 Depth=1
	v_mov_b32_e32 v36, 0
	s_mov_b32 s25, 0
	v_mov_b32_e32 v33, v43
	v_mov_b32_e32 v37, v36
	;; [unrolled: 1-line block ×4, first 2 shown]
	s_branch .LBB23_15
.LBB23_13:                              ;   in Loop: Header=BB23_15 Depth=2
	s_or_b64 exec, exec, s[16:17]
.LBB23_14:                              ;   in Loop: Header=BB23_15 Depth=2
	s_or_b64 exec, exec, s[4:5]
	s_addk_i32 s25, 0x400
	s_cmp_ge_u32 s25, s8
	v_add_u32_e32 v33, 0x800, v33
	s_cbranch_scc1 .LBB23_27
.LBB23_15:                              ;   Parent Loop BB23_11 Depth=1
                                        ; =>  This Inner Loop Header: Depth=2
	v_add_u32_e32 v34, s25, v42
	v_cmp_gt_u32_e32 vcc, s8, v34
	v_add_u32_e32 v40, 0x200, v34
	s_and_saveexec_b64 s[16:17], vcc
	s_cbranch_execnz .LBB23_18
; %bb.16:                               ;   in Loop: Header=BB23_15 Depth=2
	s_or_b64 exec, exec, s[16:17]
	s_and_saveexec_b64 s[16:17], vcc
	s_cbranch_execnz .LBB23_21
.LBB23_17:                              ;   in Loop: Header=BB23_15 Depth=2
	s_or_b64 exec, exec, s[16:17]
	s_and_saveexec_b64 s[4:5], vcc
	s_cbranch_execz .LBB23_14
	s_branch .LBB23_24
.LBB23_18:                              ;   in Loop: Header=BB23_15 Depth=2
	v_add_u32_e32 v34, s25, v44
	s_waitcnt vmcnt(1)
	v_lshlrev_b64 v[20:21], 1, v[34:35]
	s_waitcnt lgkmcnt(0)
	v_mov_b32_e32 v22, s7
	v_add_co_u32_e64 v46, s[4:5], s6, v20
	v_addc_co_u32_e64 v47, s[4:5], v22, v21, s[4:5]
	v_mov_b32_e32 v20, s15
	v_add_co_u32_e64 v48, s[4:5], s14, v46
	v_addc_co_u32_e64 v49, s[4:5], v47, v20, s[4:5]
	global_load_dwordx4 v[20:23], v[46:47], off glc slc
	global_load_dwordx4 v[28:31], v[48:49], off glc slc
	v_cmp_gt_u32_e64 s[4:5], s8, v40
	s_and_saveexec_b64 s[18:19], s[4:5]
	s_cbranch_execz .LBB23_20
; %bb.19:                               ;   in Loop: Header=BB23_15 Depth=2
	v_add_u32_e32 v34, 0x200, v34
	v_lshlrev_b64 v[12:13], 1, v[34:35]
	v_mov_b32_e32 v14, s7
	v_add_co_u32_e64 v46, s[4:5], s6, v12
	v_addc_co_u32_e64 v47, s[4:5], v14, v13, s[4:5]
	v_mov_b32_e32 v12, s15
	v_add_co_u32_e64 v48, s[4:5], s14, v46
	v_addc_co_u32_e64 v49, s[4:5], v47, v12, s[4:5]
	global_load_dwordx4 v[12:15], v[46:47], off glc slc
	global_load_dwordx4 v[16:19], v[48:49], off glc slc
.LBB23_20:                              ;   in Loop: Header=BB23_15 Depth=2
	s_or_b64 exec, exec, s[18:19]
	s_or_b64 exec, exec, s[16:17]
	s_and_saveexec_b64 s[16:17], vcc
	s_cbranch_execz .LBB23_17
.LBB23_21:                              ;   in Loop: Header=BB23_15 Depth=2
	v_add_u32_e32 v34, s20, v33
	s_waitcnt lgkmcnt(0)
	ds_read_b128 v[24:27], v33
	ds_read_b128 v[8:11], v34
	v_cmp_gt_u32_e64 s[4:5], s8, v40
	s_and_saveexec_b64 s[18:19], s[4:5]
	s_cbranch_execz .LBB23_23
; %bb.22:                               ;   in Loop: Header=BB23_15 Depth=2
	ds_read_b128 v[0:3], v33 offset:1024
	ds_read_b128 v[4:7], v34 offset:1024
.LBB23_23:                              ;   in Loop: Header=BB23_15 Depth=2
	s_or_b64 exec, exec, s[18:19]
	s_or_b64 exec, exec, s[16:17]
	s_and_saveexec_b64 s[4:5], vcc
	s_cbranch_execz .LBB23_14
.LBB23_24:                              ;   in Loop: Header=BB23_15 Depth=2
	s_waitcnt lgkmcnt(0)
	v_and_b32_e32 v47, 0xffff0000, v24
	v_lshlrev_b32_e32 v46, 16, v24
	s_waitcnt vmcnt(1)
	v_and_b32_e32 v49, 0xffff0000, v20
	v_lshlrev_b32_e32 v48, 16, v20
	s_waitcnt vmcnt(0)
	v_and_b32_e32 v71, 0xffff0000, v28
	v_lshlrev_b32_e32 v70, 16, v28
	v_pk_mul_f32 v[50:51], v[46:47], v[48:49]
	v_pk_mul_f32 v[46:47], v[46:47], v[70:71]
	v_and_b32_e32 v53, 0xffff0000, v25
	v_lshlrev_b32_e32 v52, 16, v25
	v_and_b32_e32 v55, 0xffff0000, v21
	v_lshlrev_b32_e32 v54, 16, v21
	;; [unrolled: 2-line block ×3, first 2 shown]
	v_mov_b32_e32 v78, v46
	v_mov_b32_e32 v79, v50
	;; [unrolled: 1-line block ×3, first 2 shown]
	v_pk_mul_f32 v[56:57], v[52:53], v[54:55]
	v_pk_mul_f32 v[52:53], v[52:53], v[72:73]
	v_pk_add_f32 v[46:47], v[78:79], v[50:51]
	v_and_b32_e32 v59, 0xffff0000, v26
	v_lshlrev_b32_e32 v58, 16, v26
	v_and_b32_e32 v61, 0xffff0000, v22
	v_lshlrev_b32_e32 v60, 16, v22
	;; [unrolled: 2-line block ×3, first 2 shown]
	v_pk_add_f32 v[38:39], v[38:39], v[46:47]
	v_mov_b32_e32 v46, v52
	v_mov_b32_e32 v47, v56
	;; [unrolled: 1-line block ×3, first 2 shown]
	v_pk_mul_f32 v[62:63], v[58:59], v[60:61]
	v_pk_mul_f32 v[58:59], v[58:59], v[74:75]
	v_pk_add_f32 v[46:47], v[46:47], v[56:57]
	v_and_b32_e32 v65, 0xffff0000, v27
	v_lshlrev_b32_e32 v64, 16, v27
	v_and_b32_e32 v67, 0xffff0000, v23
	v_lshlrev_b32_e32 v66, 16, v23
	v_and_b32_e32 v77, 0xffff0000, v31
	v_lshlrev_b32_e32 v76, 16, v31
	v_pk_add_f32 v[38:39], v[38:39], v[46:47]
	v_mov_b32_e32 v46, v58
	v_mov_b32_e32 v47, v62
	;; [unrolled: 1-line block ×3, first 2 shown]
	v_pk_mul_f32 v[68:69], v[64:65], v[66:67]
	v_pk_mul_f32 v[64:65], v[64:65], v[76:77]
	v_pk_add_f32 v[46:47], v[46:47], v[62:63]
	v_pk_add_f32 v[38:39], v[38:39], v[46:47]
	v_mov_b32_e32 v46, v64
	v_mov_b32_e32 v47, v68
	v_mov_b32_e32 v68, v65
	v_pk_add_f32 v[46:47], v[46:47], v[68:69]
	v_pk_add_f32 v[38:39], v[38:39], v[46:47]
	v_and_b32_e32 v47, 0xffff0000, v8
	v_lshlrev_b32_e32 v46, 16, v8
	v_pk_mul_f32 v[48:49], v[46:47], v[48:49]
	v_pk_mul_f32 v[46:47], v[46:47], v[70:71]
	v_and_b32_e32 v51, 0xffff0000, v9
	v_lshlrev_b32_e32 v50, 16, v9
	v_mov_b32_e32 v62, v46
	v_mov_b32_e32 v63, v48
	;; [unrolled: 1-line block ×3, first 2 shown]
	v_pk_mul_f32 v[52:53], v[50:51], v[54:55]
	v_pk_mul_f32 v[50:51], v[50:51], v[72:73]
	v_pk_add_f32 v[46:47], v[62:63], v[48:49]
	v_and_b32_e32 v55, 0xffff0000, v10
	v_lshlrev_b32_e32 v54, 16, v10
	v_pk_add_f32 v[36:37], v[36:37], v[46:47]
	v_mov_b32_e32 v46, v50
	v_mov_b32_e32 v47, v52
	;; [unrolled: 1-line block ×3, first 2 shown]
	v_pk_mul_f32 v[56:57], v[54:55], v[60:61]
	v_pk_mul_f32 v[54:55], v[54:55], v[74:75]
	v_pk_add_f32 v[46:47], v[46:47], v[52:53]
	v_and_b32_e32 v59, 0xffff0000, v11
	v_lshlrev_b32_e32 v58, 16, v11
	v_pk_add_f32 v[36:37], v[36:37], v[46:47]
	v_mov_b32_e32 v46, v54
	v_mov_b32_e32 v47, v56
	;; [unrolled: 1-line block ×3, first 2 shown]
	v_pk_mul_f32 v[60:61], v[58:59], v[66:67]
	v_pk_mul_f32 v[58:59], v[58:59], v[76:77]
	v_pk_add_f32 v[46:47], v[46:47], v[56:57]
	v_pk_add_f32 v[36:37], v[36:37], v[46:47]
	v_mov_b32_e32 v46, v58
	v_mov_b32_e32 v47, v60
	;; [unrolled: 1-line block ×3, first 2 shown]
	v_pk_add_f32 v[46:47], v[46:47], v[60:61]
	v_pk_add_f32 v[36:37], v[36:37], v[46:47]
	v_cmp_gt_u32_e32 vcc, s8, v40
	s_and_saveexec_b64 s[16:17], vcc
	s_cbranch_execz .LBB23_13
; %bb.25:                               ;   in Loop: Header=BB23_15 Depth=2
	v_and_b32_e32 v41, 0xffff0000, v0
	v_lshlrev_b32_e32 v40, 16, v0
	v_and_b32_e32 v47, 0xffff0000, v12
	v_lshlrev_b32_e32 v46, 16, v12
	;; [unrolled: 2-line block ×3, first 2 shown]
	v_pk_mul_f32 v[48:49], v[40:41], v[46:47]
	v_pk_mul_f32 v[40:41], v[40:41], v[68:69]
	v_and_b32_e32 v51, 0xffff0000, v1
	v_lshlrev_b32_e32 v50, 16, v1
	v_and_b32_e32 v53, 0xffff0000, v13
	v_lshlrev_b32_e32 v52, 16, v13
	;; [unrolled: 2-line block ×3, first 2 shown]
	v_mov_b32_e32 v76, v40
	v_mov_b32_e32 v77, v48
	v_mov_b32_e32 v48, v41
	v_pk_mul_f32 v[54:55], v[50:51], v[52:53]
	v_pk_mul_f32 v[50:51], v[50:51], v[70:71]
	v_pk_add_f32 v[40:41], v[76:77], v[48:49]
	v_and_b32_e32 v57, 0xffff0000, v2
	v_lshlrev_b32_e32 v56, 16, v2
	v_and_b32_e32 v59, 0xffff0000, v14
	v_lshlrev_b32_e32 v58, 16, v14
	;; [unrolled: 2-line block ×3, first 2 shown]
	v_pk_add_f32 v[38:39], v[38:39], v[40:41]
	v_mov_b32_e32 v40, v50
	v_mov_b32_e32 v41, v54
	;; [unrolled: 1-line block ×3, first 2 shown]
	v_pk_mul_f32 v[60:61], v[56:57], v[58:59]
	v_pk_mul_f32 v[56:57], v[56:57], v[72:73]
	v_pk_add_f32 v[40:41], v[40:41], v[54:55]
	v_and_b32_e32 v63, 0xffff0000, v3
	v_lshlrev_b32_e32 v62, 16, v3
	v_and_b32_e32 v65, 0xffff0000, v15
	v_lshlrev_b32_e32 v64, 16, v15
	;; [unrolled: 2-line block ×3, first 2 shown]
	v_pk_add_f32 v[38:39], v[38:39], v[40:41]
	v_mov_b32_e32 v40, v56
	v_mov_b32_e32 v41, v60
	;; [unrolled: 1-line block ×3, first 2 shown]
	v_pk_mul_f32 v[66:67], v[62:63], v[64:65]
	v_pk_mul_f32 v[62:63], v[62:63], v[74:75]
	v_pk_add_f32 v[40:41], v[40:41], v[60:61]
	v_pk_add_f32 v[38:39], v[38:39], v[40:41]
	v_mov_b32_e32 v40, v62
	v_mov_b32_e32 v41, v66
	;; [unrolled: 1-line block ×3, first 2 shown]
	v_pk_add_f32 v[40:41], v[40:41], v[66:67]
	v_pk_add_f32 v[38:39], v[38:39], v[40:41]
	v_and_b32_e32 v41, 0xffff0000, v4
	v_lshlrev_b32_e32 v40, 16, v4
	v_pk_mul_f32 v[46:47], v[40:41], v[46:47]
	v_pk_mul_f32 v[40:41], v[40:41], v[68:69]
	v_and_b32_e32 v49, 0xffff0000, v5
	v_lshlrev_b32_e32 v48, 16, v5
	v_mov_b32_e32 v60, v40
	v_mov_b32_e32 v61, v46
	;; [unrolled: 1-line block ×3, first 2 shown]
	v_pk_mul_f32 v[50:51], v[48:49], v[52:53]
	v_pk_mul_f32 v[48:49], v[48:49], v[70:71]
	v_pk_add_f32 v[40:41], v[60:61], v[46:47]
	v_and_b32_e32 v53, 0xffff0000, v6
	v_lshlrev_b32_e32 v52, 16, v6
	v_pk_add_f32 v[36:37], v[36:37], v[40:41]
	v_mov_b32_e32 v40, v48
	v_mov_b32_e32 v41, v50
	v_mov_b32_e32 v50, v49
	v_pk_mul_f32 v[54:55], v[52:53], v[58:59]
	v_pk_mul_f32 v[52:53], v[52:53], v[72:73]
	v_pk_add_f32 v[40:41], v[40:41], v[50:51]
	v_and_b32_e32 v57, 0xffff0000, v7
	v_lshlrev_b32_e32 v56, 16, v7
	v_pk_add_f32 v[36:37], v[36:37], v[40:41]
	v_mov_b32_e32 v40, v52
	v_mov_b32_e32 v41, v54
	;; [unrolled: 1-line block ×3, first 2 shown]
	v_pk_mul_f32 v[58:59], v[56:57], v[64:65]
	v_pk_mul_f32 v[56:57], v[56:57], v[74:75]
	v_pk_add_f32 v[40:41], v[40:41], v[54:55]
	v_pk_add_f32 v[36:37], v[36:37], v[40:41]
	v_mov_b32_e32 v40, v56
	v_mov_b32_e32 v41, v58
	;; [unrolled: 1-line block ×3, first 2 shown]
	v_pk_add_f32 v[40:41], v[40:41], v[58:59]
	v_pk_add_f32 v[36:37], v[36:37], v[40:41]
	s_branch .LBB23_13
.LBB23_26:                              ;   in Loop: Header=BB23_11 Depth=1
	v_mov_b32_e32 v39, v35
	v_mov_b32_e32 v38, v35
	;; [unrolled: 1-line block ×4, first 2 shown]
.LBB23_27:                              ;   in Loop: Header=BB23_11 Depth=1
	;;#ASMSTART
	s_nop 0
	v_add_f32 v39, v39, v39 row_shr:8 bound_ctrl:0 
	;;#ASMEND
	;;#ASMSTART
	s_nop 0
	v_add_f32 v38, v38, v38 row_shr:8 bound_ctrl:0 
	;;#ASMEND
	;; [unrolled: 4-line block ×12, first 2 shown]
	;;#ASMSTART
	s_nop 0
	v_add_f32 v39, v39, v39 wave_shr:1 bound_ctrl:0
	;;#ASMEND
	;;#ASMSTART
	s_nop 0
	v_add_f32 v38, v38, v38 wave_shr:1 bound_ctrl:0
	;;#ASMEND
	;; [unrolled: 4-line block ×4, first 2 shown]
	;;#ASMSTART
	s_nop 0
	v_add_f32 v39, v39, v39 row_bcast:15 bound_ctrl:0
	;;#ASMEND
	;;#ASMSTART
	s_nop 0
	v_add_f32 v38, v38, v38 row_bcast:15 bound_ctrl:0
	;;#ASMEND
	;;#ASMSTART
	s_nop 0
	v_add_f32 v37, v37, v37 row_bcast:15 bound_ctrl:0
	;;#ASMEND
	;;#ASMSTART
	s_nop 0
	v_add_f32 v36, v36, v36 row_bcast:15 bound_ctrl:0
	;;#ASMEND
	;;#ASMSTART
	s_nop 0
	v_add_f32 v39, v39, v39 row_bcast:31 bound_ctrl:0
	;;#ASMEND
	;;#ASMSTART
	s_nop 0
	v_add_f32 v38, v38, v38 row_bcast:31 bound_ctrl:0
	;;#ASMEND
	;;#ASMSTART
	s_nop 0
	v_add_f32 v37, v37, v37 row_bcast:31 bound_ctrl:0
	;;#ASMEND
	;;#ASMSTART
	s_nop 0
	v_add_f32 v36, v36, v36 row_bcast:31 bound_ctrl:0
	;;#ASMEND
	s_and_saveexec_b64 s[4:5], s[0:1]
	s_cbranch_execz .LBB23_10
; %bb.28:                               ;   in Loop: Header=BB23_11 Depth=1
	v_and_b32_e32 v33, 0x7f800000, v39
	v_cmp_ne_u32_e32 vcc, s23, v33
                                        ; implicit-def: $vgpr34
	s_and_saveexec_b64 s[16:17], vcc
	s_xor_b64 s[16:17], exec, s[16:17]
; %bb.29:                               ;   in Loop: Header=BB23_11 Depth=1
	v_bfe_u32 v33, v39, 16, 1
	v_add3_u32 v34, v39, v33, s24
; %bb.30:                               ;   in Loop: Header=BB23_11 Depth=1
	s_andn2_saveexec_b64 s[16:17], s[16:17]
; %bb.31:                               ;   in Loop: Header=BB23_11 Depth=1
	v_or_b32_e32 v33, 0x10000, v39
	v_cmp_eq_u32_sdwa vcc, v39, v35 src0_sel:WORD_0 src1_sel:DWORD
	v_cndmask_b32_e32 v34, v33, v39, vcc
; %bb.32:                               ;   in Loop: Header=BB23_11 Depth=1
	s_or_b64 exec, exec, s[16:17]
	v_mov_b32_e32 v33, v35
	v_lshlrev_b64 v[40:41], 1, v[32:33]
	s_waitcnt lgkmcnt(0)
	v_mov_b32_e32 v33, s11
	v_add_co_u32_e32 v40, vcc, s10, v40
	v_addc_co_u32_e32 v41, vcc, v33, v41, vcc
	v_and_b32_e32 v33, 0x7f800000, v38
	v_cmp_ne_u32_e32 vcc, s23, v33
	global_store_short_d16_hi v[40:41], v34, off
                                        ; implicit-def: $vgpr33
	s_and_saveexec_b64 s[16:17], vcc
	s_xor_b64 s[16:17], exec, s[16:17]
; %bb.33:                               ;   in Loop: Header=BB23_11 Depth=1
	v_bfe_u32 v33, v38, 16, 1
	v_add3_u32 v33, v38, v33, s24
                                        ; implicit-def: $vgpr38
; %bb.34:                               ;   in Loop: Header=BB23_11 Depth=1
	s_andn2_saveexec_b64 s[16:17], s[16:17]
; %bb.35:                               ;   in Loop: Header=BB23_11 Depth=1
	v_or_b32_e32 v33, 0x10000, v38
	v_cmp_eq_u32_sdwa vcc, v38, v35 src0_sel:WORD_0 src1_sel:DWORD
	v_cndmask_b32_e32 v33, v33, v38, vcc
; %bb.36:                               ;   in Loop: Header=BB23_11 Depth=1
	s_or_b64 exec, exec, s[16:17]
	global_store_short_d16_hi v[40:41], v33, off offset:2
	v_and_b32_e32 v33, 0x7f800000, v37
	v_cmp_ne_u32_e32 vcc, s23, v33
                                        ; implicit-def: $vgpr33
	s_and_saveexec_b64 s[16:17], vcc
	s_xor_b64 s[16:17], exec, s[16:17]
; %bb.37:                               ;   in Loop: Header=BB23_11 Depth=1
	v_bfe_u32 v33, v37, 16, 1
	v_add3_u32 v33, v37, v33, s24
; %bb.38:                               ;   in Loop: Header=BB23_11 Depth=1
	s_andn2_saveexec_b64 s[16:17], s[16:17]
; %bb.39:                               ;   in Loop: Header=BB23_11 Depth=1
	v_or_b32_e32 v33, 0x10000, v37
	v_cmp_eq_u32_sdwa vcc, v37, v35 src0_sel:WORD_0 src1_sel:DWORD
	v_cndmask_b32_e32 v33, v33, v37, vcc
; %bb.40:                               ;   in Loop: Header=BB23_11 Depth=1
	s_or_b64 exec, exec, s[16:17]
	v_add_u32_e32 v34, s9, v32
	v_lshlrev_b64 v[38:39], 1, v[34:35]
	v_mov_b32_e32 v37, s11
	v_add_co_u32_e32 v38, vcc, s10, v38
	v_addc_co_u32_e32 v39, vcc, v37, v39, vcc
	global_store_short_d16_hi v[38:39], v33, off
	v_and_b32_e32 v33, 0x7f800000, v36
	v_cmp_ne_u32_e32 vcc, s23, v33
                                        ; implicit-def: $vgpr33
	s_and_saveexec_b64 s[16:17], vcc
	s_xor_b64 s[16:17], exec, s[16:17]
; %bb.41:                               ;   in Loop: Header=BB23_11 Depth=1
	v_bfe_u32 v33, v36, 16, 1
	v_add3_u32 v33, v36, v33, s24
                                        ; implicit-def: $vgpr36
; %bb.42:                               ;   in Loop: Header=BB23_11 Depth=1
	s_andn2_saveexec_b64 s[16:17], s[16:17]
	s_cbranch_execz .LBB23_9
; %bb.43:                               ;   in Loop: Header=BB23_11 Depth=1
	v_or_b32_e32 v33, 0x10000, v36
	v_cmp_eq_u32_sdwa vcc, v36, v35 src0_sel:WORD_0 src1_sel:DWORD
	v_cndmask_b32_e32 v33, v33, v36, vcc
	s_branch .LBB23_9
.LBB23_44:
	s_endpgm
	.section	.rodata,"a",@progbits
	.p2align	6, 0x0
	.amdhsa_kernel _Z16wvSplitK_hf_sml_I14__hip_bfloat16Li64ELi2ELi16ELi8ELi2ELi2EEviiPKT_S3_PS1_ii
		.amdhsa_group_segment_fixed_size 65536
		.amdhsa_private_segment_fixed_size 0
		.amdhsa_kernarg_size 40
		.amdhsa_user_sgpr_count 6
		.amdhsa_user_sgpr_private_segment_buffer 1
		.amdhsa_user_sgpr_dispatch_ptr 0
		.amdhsa_user_sgpr_queue_ptr 0
		.amdhsa_user_sgpr_kernarg_segment_ptr 1
		.amdhsa_user_sgpr_dispatch_id 0
		.amdhsa_user_sgpr_flat_scratch_init 0
		.amdhsa_user_sgpr_kernarg_preload_length 0
		.amdhsa_user_sgpr_kernarg_preload_offset 0
		.amdhsa_user_sgpr_private_segment_size 0
		.amdhsa_uses_dynamic_stack 0
		.amdhsa_system_sgpr_private_segment_wavefront_offset 0
		.amdhsa_system_sgpr_workgroup_id_x 1
		.amdhsa_system_sgpr_workgroup_id_y 0
		.amdhsa_system_sgpr_workgroup_id_z 0
		.amdhsa_system_sgpr_workgroup_info 0
		.amdhsa_system_vgpr_workitem_id 1
		.amdhsa_next_free_vgpr 80
		.amdhsa_next_free_sgpr 26
		.amdhsa_accum_offset 80
		.amdhsa_reserve_vcc 1
		.amdhsa_reserve_flat_scratch 0
		.amdhsa_float_round_mode_32 0
		.amdhsa_float_round_mode_16_64 0
		.amdhsa_float_denorm_mode_32 3
		.amdhsa_float_denorm_mode_16_64 3
		.amdhsa_dx10_clamp 1
		.amdhsa_ieee_mode 1
		.amdhsa_fp16_overflow 0
		.amdhsa_tg_split 0
		.amdhsa_exception_fp_ieee_invalid_op 0
		.amdhsa_exception_fp_denorm_src 0
		.amdhsa_exception_fp_ieee_div_zero 0
		.amdhsa_exception_fp_ieee_overflow 0
		.amdhsa_exception_fp_ieee_underflow 0
		.amdhsa_exception_fp_ieee_inexact 0
		.amdhsa_exception_int_div_zero 0
	.end_amdhsa_kernel
	.section	.text._Z16wvSplitK_hf_sml_I14__hip_bfloat16Li64ELi2ELi16ELi8ELi2ELi2EEviiPKT_S3_PS1_ii,"axG",@progbits,_Z16wvSplitK_hf_sml_I14__hip_bfloat16Li64ELi2ELi16ELi8ELi2ELi2EEviiPKT_S3_PS1_ii,comdat
.Lfunc_end23:
	.size	_Z16wvSplitK_hf_sml_I14__hip_bfloat16Li64ELi2ELi16ELi8ELi2ELi2EEviiPKT_S3_PS1_ii, .Lfunc_end23-_Z16wvSplitK_hf_sml_I14__hip_bfloat16Li64ELi2ELi16ELi8ELi2ELi2EEviiPKT_S3_PS1_ii
                                        ; -- End function
	.section	.AMDGPU.csdata,"",@progbits
; Kernel info:
; codeLenInByte = 2692
; NumSgprs: 30
; NumVgprs: 80
; NumAgprs: 0
; TotalNumVgprs: 80
; ScratchSize: 0
; MemoryBound: 0
; FloatMode: 240
; IeeeMode: 1
; LDSByteSize: 65536 bytes/workgroup (compile time only)
; SGPRBlocks: 3
; VGPRBlocks: 9
; NumSGPRsForWavesPerEU: 30
; NumVGPRsForWavesPerEU: 80
; AccumOffset: 80
; Occupancy: 4
; WaveLimiterHint : 0
; COMPUTE_PGM_RSRC2:SCRATCH_EN: 0
; COMPUTE_PGM_RSRC2:USER_SGPR: 6
; COMPUTE_PGM_RSRC2:TRAP_HANDLER: 0
; COMPUTE_PGM_RSRC2:TGID_X_EN: 1
; COMPUTE_PGM_RSRC2:TGID_Y_EN: 0
; COMPUTE_PGM_RSRC2:TGID_Z_EN: 0
; COMPUTE_PGM_RSRC2:TIDIG_COMP_CNT: 1
; COMPUTE_PGM_RSRC3_GFX90A:ACCUM_OFFSET: 19
; COMPUTE_PGM_RSRC3_GFX90A:TG_SPLIT: 0
	.section	.text._Z12wvSplitK_hf_I14__hip_bfloat16Li64ELi2ELi16ELi8ELi2ELi2EEviiPKT_S3_PS1_ii,"axG",@progbits,_Z12wvSplitK_hf_I14__hip_bfloat16Li64ELi2ELi16ELi8ELi2ELi2EEviiPKT_S3_PS1_ii,comdat
	.protected	_Z12wvSplitK_hf_I14__hip_bfloat16Li64ELi2ELi16ELi8ELi2ELi2EEviiPKT_S3_PS1_ii ; -- Begin function _Z12wvSplitK_hf_I14__hip_bfloat16Li64ELi2ELi16ELi8ELi2ELi2EEviiPKT_S3_PS1_ii
	.globl	_Z12wvSplitK_hf_I14__hip_bfloat16Li64ELi2ELi16ELi8ELi2ELi2EEviiPKT_S3_PS1_ii
	.p2align	8
	.type	_Z12wvSplitK_hf_I14__hip_bfloat16Li64ELi2ELi16ELi8ELi2ELi2EEviiPKT_S3_PS1_ii,@function
_Z12wvSplitK_hf_I14__hip_bfloat16Li64ELi2ELi16ELi8ELi2ELi2EEviiPKT_S3_PS1_ii: ; @_Z12wvSplitK_hf_I14__hip_bfloat16Li64ELi2ELi16ELi8ELi2ELi2EEviiPKT_S3_PS1_ii
; %bb.0:
	s_load_dwordx2 s[2:3], s[4:5], 0x20
	s_load_dwordx2 s[8:9], s[4:5], 0x0
	;; [unrolled: 1-line block ×3, first 2 shown]
	v_bfe_u32 v3, v0, 10, 10
	s_waitcnt lgkmcnt(0)
	s_mul_i32 s0, s6, s2
	v_add_lshl_u32 v34, s0, v3, 1
	s_mov_b32 s6, 1
	v_add_u32_e32 v1, 2, v34
	v_cmp_gt_u32_e32 vcc, s9, v34
	v_cmp_le_u32_e64 s[0:1], s9, v1
	s_mov_b32 s7, s6
	s_and_b64 s[12:13], vcc, s[0:1]
	v_pk_mov_b32 v[32:33], s[6:7], s[6:7] op_sel:[0,1]
	s_and_saveexec_b64 s[0:1], s[12:13]
	s_cbranch_execz .LBB24_6
; %bb.1:
	s_add_i32 s18, s9, -2
	v_cmp_ne_u32_e32 vcc, s18, v34
	v_pk_mov_b32 v[32:33], s[6:7], s[6:7] op_sel:[0,1]
	s_and_saveexec_b64 s[6:7], vcc
	s_cbranch_execz .LBB24_5
; %bb.2:
	v_subrev_u32_e32 v1, s18, v34
	s_mov_b32 s12, 1
	v_cmp_lt_u32_e32 vcc, 1, v1
	v_cndmask_b32_e32 v2, 1, v1, vcc
	s_mov_b64 s[14:15], 0
	s_mov_b64 s[16:17], 0
	s_mov_b32 s13, s12
.LBB24_3:                               ; =>This Inner Loop Header: Depth=1
	s_cmp_lg_u32 s16, 1
	s_cselect_b32 s13, s13, 0
	s_cmp_lg_u32 s16, 0
	s_cselect_b32 s12, s12, 0
	s_add_u32 s16, s16, 1
	s_addc_u32 s17, s17, 0
	v_cmp_eq_u32_e32 vcc, s16, v2
	s_or_b64 s[14:15], vcc, s[14:15]
	v_pk_mov_b32 v[32:33], s[12:13], s[12:13] op_sel:[0,1]
	s_andn2_b64 exec, exec, s[14:15]
	s_cbranch_execnz .LBB24_3
; %bb.4:
	s_or_b64 exec, exec, s[14:15]
	v_mov_b32_e32 v34, s18
.LBB24_5:
	s_or_b64 exec, exec, s[6:7]
.LBB24_6:
	s_or_b64 exec, exec, s[0:1]
	s_lshl_b32 s26, s8, 1
	v_and_b32_e32 v2, 0x3ff, v0
	s_cmp_lg_u32 s8, 0
	v_lshlrev_b32_e32 v36, 3, v2
	s_mov_b32 s16, 0
	s_cselect_b64 s[6:7], -1, 0
	s_cmp_eq_u32 s8, 0
	v_lshlrev_b32_e32 v37, 4, v2
	s_cbranch_scc1 .LBB24_12
; %bb.7:
	v_lshlrev_b32_e32 v0, 4, v2
	s_min_i32 s17, s26, 0x8000
	v_lshl_add_u32 v4, v3, 10, v0
	v_lshl_add_u32 v5, v3, 9, v36
	s_mov_b64 s[0:1], 0
	v_mov_b32_e32 v1, 0
                                        ; implicit-def: $sgpr12_sgpr13
	s_branch .LBB24_9
.LBB24_8:                               ;   in Loop: Header=BB24_9 Depth=1
	s_or_b64 exec, exec, s[14:15]
	s_and_b64 s[14:15], exec, s[12:13]
	s_or_b64 s[0:1], s[14:15], s[0:1]
	s_andn2_b64 exec, exec, s[0:1]
	s_cbranch_execz .LBB24_11
.LBB24_9:                               ; =>This Inner Loop Header: Depth=1
	v_add_u32_e32 v0, s16, v5
	v_cmp_gt_u32_e32 vcc, s17, v0
	s_or_b64 s[12:13], s[12:13], exec
	s_and_saveexec_b64 s[14:15], vcc
	s_cbranch_execz .LBB24_8
; %bb.10:                               ;   in Loop: Header=BB24_9 Depth=1
	v_lshlrev_b64 v[6:7], 1, v[0:1]
	v_mov_b32_e32 v0, s11
	v_add_co_u32_e32 v6, vcc, s10, v6
	v_addc_co_u32_e32 v7, vcc, v0, v7, vcc
	global_load_dwordx4 v[6:9], v[6:7], off
	s_addk_i32 s16, 0x2000
	s_cmp_ge_u32 s16, s17
	s_cselect_b64 s[18:19], -1, 0
	s_andn2_b64 s[12:13], s[12:13], exec
	s_and_b64 s[18:19], s[18:19], exec
	s_or_b64 s[12:13], s[12:13], s[18:19]
	s_waitcnt vmcnt(0)
	ds_write_b128 v4, v[6:9]
	v_add_u32_e32 v4, 0x4000, v4
	s_branch .LBB24_8
.LBB24_11:
	s_or_b64 exec, exec, s[0:1]
.LBB24_12:
	v_cmp_gt_u32_e32 vcc, s2, v3
	v_cmp_gt_u32_e64 s[0:1], s9, v34
	s_and_b64 s[0:1], vcc, s[0:1]
	s_waitcnt lgkmcnt(0)
	s_barrier
	s_and_saveexec_b64 s[12:13], s[0:1]
	s_cbranch_execz .LBB24_82
; %bb.13:
	s_load_dwordx2 s[12:13], s[4:5], 0x8
	s_load_dwordx2 s[14:15], s[4:5], 0x18
	s_mul_i32 s2, s2, s3
	s_ashr_i32 s5, s8, 31
	s_mov_b32 s4, s8
	v_cndmask_b32_e64 v0, 0, 1, s[6:7]
	v_cmp_eq_u32_e64 s[0:1], 63, v2
	s_lshl_b32 s27, s2, 1
	s_add_i32 s28, s9, -2
	v_add_u32_e32 v64, s8, v36
	s_mov_b64 s[16:17], 0
	v_cmp_ne_u32_e64 s[2:3], 1, v0
	v_mov_b32_e32 v39, 0
	s_lshl_b64 s[18:19], s[4:5], 1
	s_movk_i32 s29, 0x7fff
	s_mov_b32 s30, 0x7f800000
                                        ; implicit-def: $vgpr4_vgpr5_vgpr6_vgpr7
                                        ; implicit-def: $vgpr16_vgpr17_vgpr18_vgpr19
                                        ; implicit-def: $vgpr0_vgpr1_vgpr2_vgpr3
                                        ; implicit-def: $vgpr8_vgpr9_vgpr10_vgpr11
                                        ; implicit-def: $vgpr15
                                        ; implicit-def: $vgpr27
                                        ; implicit-def: $vgpr23
                                        ; implicit-def: $vgpr31
	s_branch .LBB24_16
.LBB24_14:                              ;   in Loop: Header=BB24_16 Depth=1
	s_or_b64 exec, exec, s[20:21]
	v_mov_b32_e32 v34, s28
.LBB24_15:                              ;   in Loop: Header=BB24_16 Depth=1
	s_or_b64 exec, exec, s[6:7]
	v_cmp_le_u32_e32 vcc, s9, v34
	s_or_b64 s[16:17], vcc, s[16:17]
	s_andn2_b64 exec, exec, s[16:17]
	s_cbranch_execz .LBB24_82
.LBB24_16:                              ; =>This Loop Header: Depth=1
                                        ;     Child Loop BB24_20 Depth 2
                                        ;     Child Loop BB24_80 Depth 2
	s_and_b64 vcc, exec, s[2:3]
	s_cbranch_vccnz .LBB24_51
; %bb.17:                               ;   in Loop: Header=BB24_16 Depth=1
	v_mov_b32_e32 v42, 0
	v_mad_u64_u32 v[44:45], s[4:5], v34, s8, v[36:37]
	s_mov_b32 s24, 0
	v_mov_b32_e32 v35, v37
	v_mov_b32_e32 v43, v42
	;; [unrolled: 1-line block ×4, first 2 shown]
	s_branch .LBB24_20
.LBB24_18:                              ;   in Loop: Header=BB24_20 Depth=2
	s_or_b64 exec, exec, s[6:7]
.LBB24_19:                              ;   in Loop: Header=BB24_20 Depth=2
	s_or_b64 exec, exec, s[4:5]
	s_addk_i32 s24, 0x400
	s_cmp_ge_u32 s24, s8
	v_add_u32_e32 v35, 0x800, v35
	s_cbranch_scc1 .LBB24_52
.LBB24_20:                              ;   Parent Loop BB24_16 Depth=1
                                        ; =>  This Inner Loop Header: Depth=2
	v_add_u32_e32 v48, s24, v36
	v_cmp_gt_u32_e32 vcc, s8, v48
	v_add_u32_e32 v46, 0x200, v48
	s_and_saveexec_b64 s[6:7], vcc
	s_cbranch_execz .LBB24_24
; %bb.21:                               ;   in Loop: Header=BB24_20 Depth=2
	v_add_u32_e32 v38, s24, v44
	v_lshlrev_b64 v[8:9], 1, v[38:39]
	s_waitcnt lgkmcnt(0)
	v_mov_b32_e32 v10, s13
	v_add_co_u32_e64 v50, s[4:5], s12, v8
	v_addc_co_u32_e64 v51, s[4:5], v10, v9, s[4:5]
	v_mov_b32_e32 v8, s19
	v_add_co_u32_e64 v52, s[4:5], s18, v50
	v_addc_co_u32_e64 v53, s[4:5], v51, v8, s[4:5]
	global_load_dwordx4 v[8:11], v[50:51], off glc slc
	global_load_dwordx4 v[16:19], v[52:53], off glc slc
	v_cmp_gt_u32_e64 s[4:5], s8, v46
	s_and_saveexec_b64 s[20:21], s[4:5]
	s_cbranch_execz .LBB24_23
; %bb.22:                               ;   in Loop: Header=BB24_20 Depth=2
	v_add_u32_e32 v38, 0x200, v38
	v_lshlrev_b64 v[0:1], 1, v[38:39]
	v_mov_b32_e32 v2, s13
	v_add_co_u32_e64 v50, s[4:5], s12, v0
	v_addc_co_u32_e64 v51, s[4:5], v2, v1, s[4:5]
	v_mov_b32_e32 v0, s19
	v_add_co_u32_e64 v52, s[4:5], s18, v50
	v_addc_co_u32_e64 v53, s[4:5], v51, v0, s[4:5]
	global_load_dwordx4 v[0:3], v[50:51], off glc slc
	global_load_dwordx4 v[4:7], v[52:53], off glc slc
.LBB24_23:                              ;   in Loop: Header=BB24_20 Depth=2
	s_or_b64 exec, exec, s[20:21]
.LBB24_24:                              ;   in Loop: Header=BB24_20 Depth=2
	s_or_b64 exec, exec, s[6:7]
	s_and_saveexec_b64 s[6:7], vcc
	s_cbranch_execz .LBB24_44
; %bb.25:                               ;   in Loop: Header=BB24_20 Depth=2
	v_cmp_lt_u32_e64 s[4:5], s29, v48
                                        ; implicit-def: $vgpr12
	s_and_saveexec_b64 s[20:21], s[4:5]
	s_xor_b64 s[20:21], exec, s[20:21]
	s_cbranch_execz .LBB24_27
; %bb.26:                               ;   in Loop: Header=BB24_20 Depth=2
	v_mov_b32_e32 v49, v39
	s_waitcnt lgkmcnt(0)
	v_lshlrev_b64 v[12:13], 1, v[48:49]
	v_mov_b32_e32 v14, s11
	v_add_co_u32_e64 v12, s[4:5], s10, v12
	v_addc_co_u32_e64 v13, s[4:5], v14, v13, s[4:5]
	global_load_dwordx4 v[12:15], v[12:13], off
.LBB24_27:                              ;   in Loop: Header=BB24_20 Depth=2
	s_andn2_saveexec_b64 s[4:5], s[20:21]
	s_cbranch_execz .LBB24_29
; %bb.28:                               ;   in Loop: Header=BB24_20 Depth=2
	s_waitcnt vmcnt(0) lgkmcnt(0)
	ds_read_b128 v[12:15], v35
.LBB24_29:                              ;   in Loop: Header=BB24_20 Depth=2
	s_or_b64 exec, exec, s[4:5]
	v_add_u32_e32 v38, s24, v64
	v_cmp_lt_u32_e64 s[4:5], s29, v38
                                        ; implicit-def: $vgpr24
	s_and_saveexec_b64 s[20:21], s[4:5]
	s_xor_b64 s[20:21], exec, s[20:21]
	s_cbranch_execnz .LBB24_32
; %bb.30:                               ;   in Loop: Header=BB24_20 Depth=2
	s_andn2_saveexec_b64 s[4:5], s[20:21]
	s_cbranch_execnz .LBB24_33
.LBB24_31:                              ;   in Loop: Header=BB24_20 Depth=2
	s_or_b64 exec, exec, s[4:5]
	v_cmp_gt_u32_e64 s[4:5], s8, v46
	s_and_saveexec_b64 s[20:21], s[4:5]
	s_cbranch_execnz .LBB24_34
	s_branch .LBB24_43
.LBB24_32:                              ;   in Loop: Header=BB24_20 Depth=2
	s_waitcnt lgkmcnt(0)
	v_lshlrev_b64 v[24:25], 1, v[38:39]
	v_mov_b32_e32 v26, s11
	v_add_co_u32_e64 v24, s[4:5], s10, v24
	v_addc_co_u32_e64 v25, s[4:5], v26, v25, s[4:5]
	global_load_dwordx4 v[24:27], v[24:25], off
	s_andn2_saveexec_b64 s[4:5], s[20:21]
	s_cbranch_execz .LBB24_31
.LBB24_33:                              ;   in Loop: Header=BB24_20 Depth=2
	s_waitcnt vmcnt(0) lgkmcnt(0)
	v_add_u32_e32 v24, s26, v35
	ds_read_b128 v[24:27], v24
	s_or_b64 exec, exec, s[4:5]
	v_cmp_gt_u32_e64 s[4:5], s8, v46
	s_and_saveexec_b64 s[20:21], s[4:5]
	s_cbranch_execz .LBB24_43
.LBB24_34:                              ;   in Loop: Header=BB24_20 Depth=2
	v_cmp_lt_u32_e64 s[4:5], s29, v46
                                        ; implicit-def: $vgpr20
	s_and_saveexec_b64 s[22:23], s[4:5]
	s_xor_b64 s[22:23], exec, s[22:23]
	s_cbranch_execz .LBB24_36
; %bb.35:                               ;   in Loop: Header=BB24_20 Depth=2
	v_mov_b32_e32 v47, v39
	s_waitcnt lgkmcnt(0)
	v_lshlrev_b64 v[20:21], 1, v[46:47]
	v_mov_b32_e32 v22, s11
	v_add_co_u32_e64 v20, s[4:5], s10, v20
	v_addc_co_u32_e64 v21, s[4:5], v22, v21, s[4:5]
	global_load_dwordx4 v[20:23], v[20:21], off
.LBB24_36:                              ;   in Loop: Header=BB24_20 Depth=2
	s_andn2_saveexec_b64 s[4:5], s[22:23]
	s_cbranch_execz .LBB24_38
; %bb.37:                               ;   in Loop: Header=BB24_20 Depth=2
	s_waitcnt vmcnt(0) lgkmcnt(0)
	ds_read_b128 v[20:23], v35 offset:1024
.LBB24_38:                              ;   in Loop: Header=BB24_20 Depth=2
	s_or_b64 exec, exec, s[4:5]
	v_add_u32_e32 v38, 0x200, v38
	v_cmp_lt_u32_e64 s[4:5], s29, v38
                                        ; implicit-def: $vgpr28
	s_and_saveexec_b64 s[22:23], s[4:5]
	s_xor_b64 s[22:23], exec, s[22:23]
	s_cbranch_execz .LBB24_40
; %bb.39:                               ;   in Loop: Header=BB24_20 Depth=2
	s_waitcnt lgkmcnt(0)
	v_lshlrev_b64 v[28:29], 1, v[38:39]
	v_mov_b32_e32 v30, s11
	v_add_co_u32_e64 v28, s[4:5], s10, v28
	v_addc_co_u32_e64 v29, s[4:5], v30, v29, s[4:5]
	global_load_dwordx4 v[28:31], v[28:29], off
.LBB24_40:                              ;   in Loop: Header=BB24_20 Depth=2
	s_andn2_saveexec_b64 s[4:5], s[22:23]
	s_cbranch_execz .LBB24_42
; %bb.41:                               ;   in Loop: Header=BB24_20 Depth=2
	s_waitcnt vmcnt(0) lgkmcnt(0)
	v_add_u32_e32 v28, s26, v35
	ds_read_b128 v[28:31], v28 offset:1024
.LBB24_42:                              ;   in Loop: Header=BB24_20 Depth=2
	s_or_b64 exec, exec, s[4:5]
.LBB24_43:                              ;   in Loop: Header=BB24_20 Depth=2
	s_or_b64 exec, exec, s[20:21]
.LBB24_44:                              ;   in Loop: Header=BB24_20 Depth=2
	s_or_b64 exec, exec, s[6:7]
	s_waitcnt vmcnt(1)
	v_and_b32_e32 v63, 0xffff0000, v8
	v_lshlrev_b32_e32 v62, 16, v8
	v_and_b32_e32 v61, 0xffff0000, v9
	v_lshlrev_b32_e32 v60, 16, v9
	;; [unrolled: 2-line block ×4, first 2 shown]
	s_waitcnt vmcnt(0)
	v_and_b32_e32 v55, 0xffff0000, v16
	v_lshlrev_b32_e32 v54, 16, v16
	v_and_b32_e32 v53, 0xffff0000, v17
	v_lshlrev_b32_e32 v52, 16, v17
	;; [unrolled: 2-line block ×4, first 2 shown]
	s_and_saveexec_b64 s[6:7], vcc
	s_cbranch_execz .LBB24_48
; %bb.45:                               ;   in Loop: Header=BB24_20 Depth=2
	s_waitcnt lgkmcnt(0)
	v_and_b32_e32 v67, 0xffff0000, v12
	v_lshlrev_b32_e32 v66, 16, v12
	v_pk_mul_f32 v[68:69], v[66:67], v[62:63]
	v_pk_mul_f32 v[66:67], v[66:67], v[54:55]
	v_and_b32_e32 v71, 0xffff0000, v13
	v_lshlrev_b32_e32 v70, 16, v13
	v_mov_b32_e32 v82, v66
	v_mov_b32_e32 v83, v68
	;; [unrolled: 1-line block ×3, first 2 shown]
	v_pk_mul_f32 v[72:73], v[70:71], v[60:61]
	v_pk_mul_f32 v[70:71], v[70:71], v[52:53]
	v_pk_add_f32 v[66:67], v[82:83], v[68:69]
	v_and_b32_e32 v75, 0xffff0000, v14
	v_lshlrev_b32_e32 v74, 16, v14
	v_pk_add_f32 v[42:43], v[42:43], v[66:67]
	v_mov_b32_e32 v66, v70
	v_mov_b32_e32 v67, v72
	v_mov_b32_e32 v72, v71
	v_pk_mul_f32 v[76:77], v[74:75], v[58:59]
	v_pk_mul_f32 v[74:75], v[74:75], v[50:51]
	v_pk_add_f32 v[66:67], v[66:67], v[72:73]
	v_and_b32_e32 v79, 0xffff0000, v15
	v_lshlrev_b32_e32 v78, 16, v15
	v_pk_add_f32 v[42:43], v[42:43], v[66:67]
	v_mov_b32_e32 v66, v74
	v_mov_b32_e32 v67, v76
	;; [unrolled: 1-line block ×3, first 2 shown]
	v_pk_mul_f32 v[80:81], v[78:79], v[56:57]
	v_pk_mul_f32 v[78:79], v[78:79], v[48:49]
	v_pk_add_f32 v[66:67], v[66:67], v[76:77]
	v_pk_add_f32 v[42:43], v[42:43], v[66:67]
	v_mov_b32_e32 v66, v78
	v_mov_b32_e32 v67, v80
	;; [unrolled: 1-line block ×3, first 2 shown]
	v_pk_add_f32 v[66:67], v[66:67], v[80:81]
	v_pk_add_f32 v[42:43], v[42:43], v[66:67]
	v_cmp_gt_u32_e64 s[4:5], s8, v46
	s_and_saveexec_b64 s[20:21], s[4:5]
	s_cbranch_execz .LBB24_47
; %bb.46:                               ;   in Loop: Header=BB24_20 Depth=2
	v_and_b32_e32 v67, 0xffff0000, v20
	v_lshlrev_b32_e32 v66, 16, v20
	v_and_b32_e32 v69, 0xffff0000, v0
	v_lshlrev_b32_e32 v68, 16, v0
	;; [unrolled: 2-line block ×3, first 2 shown]
	v_pk_mul_f32 v[68:69], v[66:67], v[68:69]
	v_and_b32_e32 v71, 0xffff0000, v21
	v_lshlrev_b32_e32 v70, 16, v21
	v_and_b32_e32 v73, 0xffff0000, v1
	v_lshlrev_b32_e32 v72, 16, v1
	v_pk_mul_f32 v[66:67], v[66:67], v[82:83]
	v_and_b32_e32 v83, 0xffff0000, v5
	v_lshlrev_b32_e32 v82, 16, v5
	v_pk_mul_f32 v[72:73], v[70:71], v[72:73]
	v_and_b32_e32 v75, 0xffff0000, v22
	v_lshlrev_b32_e32 v74, 16, v22
	v_and_b32_e32 v77, 0xffff0000, v2
	v_lshlrev_b32_e32 v76, 16, v2
	v_pk_mul_f32 v[70:71], v[70:71], v[82:83]
	v_and_b32_e32 v83, 0xffff0000, v6
	v_lshlrev_b32_e32 v82, 16, v6
	;; [unrolled: 8-line block ×3, first 2 shown]
	v_pk_mul_f32 v[80:81], v[78:79], v[80:81]
	v_pk_mul_f32 v[78:79], v[78:79], v[82:83]
	v_mov_b32_e32 v82, v66
	v_mov_b32_e32 v83, v68
	v_mov_b32_e32 v68, v67
	v_pk_add_f32 v[66:67], v[82:83], v[68:69]
	v_pk_add_f32 v[42:43], v[42:43], v[66:67]
	v_mov_b32_e32 v66, v70
	v_mov_b32_e32 v67, v72
	v_mov_b32_e32 v72, v71
	v_pk_add_f32 v[66:67], v[66:67], v[72:73]
	v_pk_add_f32 v[42:43], v[42:43], v[66:67]
	;; [unrolled: 5-line block ×4, first 2 shown]
.LBB24_47:                              ;   in Loop: Header=BB24_20 Depth=2
	s_or_b64 exec, exec, s[20:21]
.LBB24_48:                              ;   in Loop: Header=BB24_20 Depth=2
	s_or_b64 exec, exec, s[6:7]
	s_and_saveexec_b64 s[4:5], vcc
	s_cbranch_execz .LBB24_19
; %bb.49:                               ;   in Loop: Header=BB24_20 Depth=2
	s_waitcnt lgkmcnt(0)
	v_and_b32_e32 v67, 0xffff0000, v24
	v_lshlrev_b32_e32 v66, 16, v24
	v_pk_mul_f32 v[62:63], v[66:67], v[62:63]
	v_pk_mul_f32 v[54:55], v[66:67], v[54:55]
	v_and_b32_e32 v69, 0xffff0000, v25
	v_lshlrev_b32_e32 v68, 16, v25
	v_mov_b32_e32 v66, v54
	v_mov_b32_e32 v67, v62
	;; [unrolled: 1-line block ×3, first 2 shown]
	v_pk_mul_f32 v[60:61], v[68:69], v[60:61]
	v_pk_mul_f32 v[52:53], v[68:69], v[52:53]
	v_pk_add_f32 v[54:55], v[66:67], v[62:63]
	v_and_b32_e32 v71, 0xffff0000, v26
	v_lshlrev_b32_e32 v70, 16, v26
	v_pk_add_f32 v[40:41], v[40:41], v[54:55]
	v_mov_b32_e32 v54, v52
	v_mov_b32_e32 v55, v60
	;; [unrolled: 1-line block ×3, first 2 shown]
	v_pk_mul_f32 v[58:59], v[70:71], v[58:59]
	v_pk_mul_f32 v[50:51], v[70:71], v[50:51]
	v_pk_add_f32 v[52:53], v[54:55], v[60:61]
	v_and_b32_e32 v73, 0xffff0000, v27
	v_lshlrev_b32_e32 v72, 16, v27
	v_pk_add_f32 v[40:41], v[40:41], v[52:53]
	v_mov_b32_e32 v52, v50
	v_mov_b32_e32 v53, v58
	v_mov_b32_e32 v58, v51
	v_pk_mul_f32 v[56:57], v[72:73], v[56:57]
	v_pk_mul_f32 v[48:49], v[72:73], v[48:49]
	v_pk_add_f32 v[50:51], v[52:53], v[58:59]
	v_pk_add_f32 v[40:41], v[40:41], v[50:51]
	v_mov_b32_e32 v50, v48
	v_mov_b32_e32 v51, v56
	;; [unrolled: 1-line block ×3, first 2 shown]
	v_pk_add_f32 v[48:49], v[50:51], v[56:57]
	v_pk_add_f32 v[40:41], v[40:41], v[48:49]
	v_cmp_gt_u32_e32 vcc, s8, v46
	s_and_saveexec_b64 s[6:7], vcc
	s_cbranch_execz .LBB24_18
; %bb.50:                               ;   in Loop: Header=BB24_20 Depth=2
	v_and_b32_e32 v47, 0xffff0000, v28
	v_lshlrev_b32_e32 v46, 16, v28
	v_and_b32_e32 v49, 0xffff0000, v0
	v_lshlrev_b32_e32 v48, 16, v0
	;; [unrolled: 2-line block ×3, first 2 shown]
	v_pk_mul_f32 v[48:49], v[46:47], v[48:49]
	v_and_b32_e32 v51, 0xffff0000, v29
	v_lshlrev_b32_e32 v50, 16, v29
	v_and_b32_e32 v53, 0xffff0000, v1
	v_lshlrev_b32_e32 v52, 16, v1
	v_pk_mul_f32 v[46:47], v[46:47], v[62:63]
	v_and_b32_e32 v63, 0xffff0000, v5
	v_lshlrev_b32_e32 v62, 16, v5
	v_pk_mul_f32 v[52:53], v[50:51], v[52:53]
	v_and_b32_e32 v55, 0xffff0000, v30
	v_lshlrev_b32_e32 v54, 16, v30
	v_and_b32_e32 v57, 0xffff0000, v2
	v_lshlrev_b32_e32 v56, 16, v2
	v_pk_mul_f32 v[50:51], v[50:51], v[62:63]
	v_and_b32_e32 v63, 0xffff0000, v6
	v_lshlrev_b32_e32 v62, 16, v6
	;; [unrolled: 8-line block ×3, first 2 shown]
	v_pk_mul_f32 v[60:61], v[58:59], v[60:61]
	v_pk_mul_f32 v[58:59], v[58:59], v[62:63]
	v_mov_b32_e32 v62, v46
	v_mov_b32_e32 v63, v48
	v_mov_b32_e32 v48, v47
	v_pk_add_f32 v[46:47], v[62:63], v[48:49]
	v_pk_add_f32 v[40:41], v[40:41], v[46:47]
	v_mov_b32_e32 v46, v50
	v_mov_b32_e32 v47, v52
	v_mov_b32_e32 v52, v51
	v_pk_add_f32 v[46:47], v[46:47], v[52:53]
	v_pk_add_f32 v[40:41], v[40:41], v[46:47]
	;; [unrolled: 5-line block ×4, first 2 shown]
	s_branch .LBB24_18
.LBB24_51:                              ;   in Loop: Header=BB24_16 Depth=1
	v_mov_b32_e32 v41, v39
	v_mov_b32_e32 v40, v39
	;; [unrolled: 1-line block ×4, first 2 shown]
.LBB24_52:                              ;   in Loop: Header=BB24_16 Depth=1
	;;#ASMSTART
	s_nop 0
	v_add_f32 v43, v43, v43 row_shr:8 bound_ctrl:0 
	;;#ASMEND
	;;#ASMSTART
	s_nop 0
	v_add_f32 v42, v42, v42 row_shr:8 bound_ctrl:0 
	;;#ASMEND
	;; [unrolled: 4-line block ×12, first 2 shown]
	;;#ASMSTART
	s_nop 0
	v_add_f32 v43, v43, v43 wave_shr:1 bound_ctrl:0
	;;#ASMEND
	;;#ASMSTART
	s_nop 0
	v_add_f32 v42, v42, v42 wave_shr:1 bound_ctrl:0
	;;#ASMEND
	;; [unrolled: 4-line block ×4, first 2 shown]
	;;#ASMSTART
	s_nop 0
	v_add_f32 v43, v43, v43 row_bcast:15 bound_ctrl:0
	;;#ASMEND
	;;#ASMSTART
	s_nop 0
	v_add_f32 v42, v42, v42 row_bcast:15 bound_ctrl:0
	;;#ASMEND
	;; [unrolled: 4-line block ×8, first 2 shown]
	s_and_saveexec_b64 s[20:21], s[0:1]
	s_cbranch_execz .LBB24_77
; %bb.53:                               ;   in Loop: Header=BB24_16 Depth=1
	v_cmp_ne_u32_e32 vcc, 0, v32
	s_and_saveexec_b64 s[6:7], vcc
	s_cbranch_execnz .LBB24_57
; %bb.54:                               ;   in Loop: Header=BB24_16 Depth=1
	s_or_b64 exec, exec, s[6:7]
	v_cmp_ne_u32_e64 s[4:5], 0, v33
	s_and_saveexec_b64 s[22:23], s[4:5]
	s_cbranch_execnz .LBB24_62
.LBB24_55:                              ;   in Loop: Header=BB24_16 Depth=1
	s_or_b64 exec, exec, s[22:23]
	v_add_u32_e32 v38, s9, v34
	s_and_saveexec_b64 s[6:7], vcc
	s_cbranch_execnz .LBB24_67
.LBB24_56:                              ;   in Loop: Header=BB24_16 Depth=1
	s_or_b64 exec, exec, s[6:7]
	s_and_b64 exec, exec, s[4:5]
	s_cbranch_execnz .LBB24_72
	s_branch .LBB24_77
.LBB24_57:                              ;   in Loop: Header=BB24_16 Depth=1
	v_and_b32_e32 v35, 0x7f800000, v43
	v_cmp_ne_u32_e64 s[4:5], s30, v35
                                        ; implicit-def: $vgpr38
	s_and_saveexec_b64 s[22:23], s[4:5]
	s_xor_b64 s[4:5], exec, s[22:23]
; %bb.58:                               ;   in Loop: Header=BB24_16 Depth=1
	v_bfe_u32 v35, v43, 16, 1
	v_add3_u32 v38, v43, v35, s29
; %bb.59:                               ;   in Loop: Header=BB24_16 Depth=1
	s_andn2_saveexec_b64 s[22:23], s[4:5]
; %bb.60:                               ;   in Loop: Header=BB24_16 Depth=1
	v_or_b32_e32 v35, 0x10000, v43
	v_cmp_eq_u32_sdwa s[4:5], v43, v39 src0_sel:WORD_0 src1_sel:DWORD
	v_cndmask_b32_e64 v38, v35, v43, s[4:5]
; %bb.61:                               ;   in Loop: Header=BB24_16 Depth=1
	s_or_b64 exec, exec, s[22:23]
	v_mov_b32_e32 v35, v39
	v_lshlrev_b64 v[44:45], 1, v[34:35]
	s_waitcnt lgkmcnt(0)
	v_mov_b32_e32 v35, s15
	v_add_co_u32_e64 v44, s[4:5], s14, v44
	v_addc_co_u32_e64 v45, s[4:5], v35, v45, s[4:5]
	global_store_short_d16_hi v[44:45], v38, off
	s_or_b64 exec, exec, s[6:7]
	v_cmp_ne_u32_e64 s[4:5], 0, v33
	s_and_saveexec_b64 s[22:23], s[4:5]
	s_cbranch_execz .LBB24_55
.LBB24_62:                              ;   in Loop: Header=BB24_16 Depth=1
	v_and_b32_e32 v35, 0x7f800000, v42
	v_cmp_ne_u32_e64 s[6:7], s30, v35
                                        ; implicit-def: $vgpr35
	s_and_saveexec_b64 s[24:25], s[6:7]
	s_xor_b64 s[6:7], exec, s[24:25]
; %bb.63:                               ;   in Loop: Header=BB24_16 Depth=1
	v_bfe_u32 v35, v42, 16, 1
	v_add3_u32 v35, v42, v35, s29
                                        ; implicit-def: $vgpr42
; %bb.64:                               ;   in Loop: Header=BB24_16 Depth=1
	s_andn2_saveexec_b64 s[24:25], s[6:7]
; %bb.65:                               ;   in Loop: Header=BB24_16 Depth=1
	v_or_b32_e32 v35, 0x10000, v42
	v_cmp_eq_u32_sdwa s[6:7], v42, v39 src0_sel:WORD_0 src1_sel:DWORD
	v_cndmask_b32_e64 v35, v35, v42, s[6:7]
; %bb.66:                               ;   in Loop: Header=BB24_16 Depth=1
	s_or_b64 exec, exec, s[24:25]
	v_add_u32_e32 v38, 1, v34
	v_lshlrev_b64 v[42:43], 1, v[38:39]
	s_waitcnt lgkmcnt(0)
	v_mov_b32_e32 v38, s15
	v_add_co_u32_e64 v42, s[6:7], s14, v42
	v_addc_co_u32_e64 v43, s[6:7], v38, v43, s[6:7]
	global_store_short_d16_hi v[42:43], v35, off
	s_or_b64 exec, exec, s[22:23]
	v_add_u32_e32 v38, s9, v34
	s_and_saveexec_b64 s[6:7], vcc
	s_cbranch_execz .LBB24_56
.LBB24_67:                              ;   in Loop: Header=BB24_16 Depth=1
	v_and_b32_e32 v35, 0x7f800000, v41
	v_cmp_ne_u32_e32 vcc, s30, v35
                                        ; implicit-def: $vgpr35
	s_and_saveexec_b64 s[22:23], vcc
	s_xor_b64 s[22:23], exec, s[22:23]
; %bb.68:                               ;   in Loop: Header=BB24_16 Depth=1
	v_bfe_u32 v35, v41, 16, 1
	v_add3_u32 v35, v41, v35, s29
; %bb.69:                               ;   in Loop: Header=BB24_16 Depth=1
	s_andn2_saveexec_b64 s[22:23], s[22:23]
; %bb.70:                               ;   in Loop: Header=BB24_16 Depth=1
	v_or_b32_e32 v35, 0x10000, v41
	v_cmp_eq_u32_sdwa vcc, v41, v39 src0_sel:WORD_0 src1_sel:DWORD
	v_cndmask_b32_e32 v35, v35, v41, vcc
; %bb.71:                               ;   in Loop: Header=BB24_16 Depth=1
	s_or_b64 exec, exec, s[22:23]
	v_lshlrev_b64 v[42:43], 1, v[38:39]
	s_waitcnt lgkmcnt(0)
	v_mov_b32_e32 v41, s15
	v_add_co_u32_e32 v42, vcc, s14, v42
	v_addc_co_u32_e32 v43, vcc, v41, v43, vcc
	global_store_short_d16_hi v[42:43], v35, off
	s_or_b64 exec, exec, s[6:7]
	s_and_b64 exec, exec, s[4:5]
	s_cbranch_execz .LBB24_77
.LBB24_72:                              ;   in Loop: Header=BB24_16 Depth=1
	v_and_b32_e32 v35, 0x7f800000, v40
	v_cmp_ne_u32_e32 vcc, s30, v35
                                        ; implicit-def: $vgpr35
	s_and_saveexec_b64 s[4:5], vcc
	s_xor_b64 s[4:5], exec, s[4:5]
; %bb.73:                               ;   in Loop: Header=BB24_16 Depth=1
	v_bfe_u32 v35, v40, 16, 1
	v_add3_u32 v35, v40, v35, s29
                                        ; implicit-def: $vgpr40
; %bb.74:                               ;   in Loop: Header=BB24_16 Depth=1
	s_andn2_saveexec_b64 s[4:5], s[4:5]
; %bb.75:                               ;   in Loop: Header=BB24_16 Depth=1
	v_or_b32_e32 v35, 0x10000, v40
	v_cmp_eq_u32_sdwa vcc, v40, v39 src0_sel:WORD_0 src1_sel:DWORD
	v_cndmask_b32_e32 v35, v35, v40, vcc
; %bb.76:                               ;   in Loop: Header=BB24_16 Depth=1
	s_or_b64 exec, exec, s[4:5]
	v_add_u32_e32 v38, 1, v38
	v_lshlrev_b64 v[40:41], 1, v[38:39]
	s_waitcnt lgkmcnt(0)
	v_mov_b32_e32 v38, s15
	v_add_co_u32_e32 v40, vcc, s14, v40
	v_addc_co_u32_e32 v41, vcc, v38, v41, vcc
	global_store_short_d16_hi v[40:41], v35, off
.LBB24_77:                              ;   in Loop: Header=BB24_16 Depth=1
	s_or_b64 exec, exec, s[20:21]
	v_add_u32_e32 v34, s27, v34
	v_add_u32_e32 v35, 2, v34
	v_cmp_gt_u32_e32 vcc, s9, v34
	v_cmp_le_u32_e64 s[4:5], s9, v35
	s_and_b64 s[4:5], vcc, s[4:5]
	s_and_saveexec_b64 s[6:7], s[4:5]
	s_cbranch_execz .LBB24_15
; %bb.78:                               ;   in Loop: Header=BB24_16 Depth=1
	v_cmp_ne_u32_e32 vcc, s28, v34
	s_and_saveexec_b64 s[20:21], vcc
	s_cbranch_execz .LBB24_14
; %bb.79:                               ;   in Loop: Header=BB24_16 Depth=1
	v_subrev_u32_e32 v34, s28, v34
	v_cmp_lt_u32_e32 vcc, 1, v34
	v_cndmask_b32_e32 v34, 1, v34, vcc
	s_mov_b64 s[22:23], 0
	s_mov_b64 s[24:25], 0
.LBB24_80:                              ;   Parent Loop BB24_16 Depth=1
                                        ; =>  This Inner Loop Header: Depth=2
	s_cmp_lg_u32 s24, 1
	s_cselect_b64 vcc, -1, 0
	s_cmp_lg_u32 s24, 0
	v_cndmask_b32_e32 v33, 0, v33, vcc
	s_cselect_b64 vcc, -1, 0
	s_add_u32 s24, s24, 1
	s_addc_u32 s25, s25, 0
	v_cmp_eq_u32_e64 s[4:5], s24, v34
	s_or_b64 s[22:23], s[4:5], s[22:23]
	v_cndmask_b32_e32 v32, 0, v32, vcc
	s_andn2_b64 exec, exec, s[22:23]
	s_cbranch_execnz .LBB24_80
; %bb.81:                               ;   in Loop: Header=BB24_16 Depth=1
	s_or_b64 exec, exec, s[22:23]
	s_branch .LBB24_14
.LBB24_82:
	s_endpgm
	.section	.rodata,"a",@progbits
	.p2align	6, 0x0
	.amdhsa_kernel _Z12wvSplitK_hf_I14__hip_bfloat16Li64ELi2ELi16ELi8ELi2ELi2EEviiPKT_S3_PS1_ii
		.amdhsa_group_segment_fixed_size 65536
		.amdhsa_private_segment_fixed_size 0
		.amdhsa_kernarg_size 40
		.amdhsa_user_sgpr_count 6
		.amdhsa_user_sgpr_private_segment_buffer 1
		.amdhsa_user_sgpr_dispatch_ptr 0
		.amdhsa_user_sgpr_queue_ptr 0
		.amdhsa_user_sgpr_kernarg_segment_ptr 1
		.amdhsa_user_sgpr_dispatch_id 0
		.amdhsa_user_sgpr_flat_scratch_init 0
		.amdhsa_user_sgpr_kernarg_preload_length 0
		.amdhsa_user_sgpr_kernarg_preload_offset 0
		.amdhsa_user_sgpr_private_segment_size 0
		.amdhsa_uses_dynamic_stack 0
		.amdhsa_system_sgpr_private_segment_wavefront_offset 0
		.amdhsa_system_sgpr_workgroup_id_x 1
		.amdhsa_system_sgpr_workgroup_id_y 0
		.amdhsa_system_sgpr_workgroup_id_z 0
		.amdhsa_system_sgpr_workgroup_info 0
		.amdhsa_system_vgpr_workitem_id 1
		.amdhsa_next_free_vgpr 84
		.amdhsa_next_free_sgpr 31
		.amdhsa_accum_offset 84
		.amdhsa_reserve_vcc 1
		.amdhsa_reserve_flat_scratch 0
		.amdhsa_float_round_mode_32 0
		.amdhsa_float_round_mode_16_64 0
		.amdhsa_float_denorm_mode_32 3
		.amdhsa_float_denorm_mode_16_64 3
		.amdhsa_dx10_clamp 1
		.amdhsa_ieee_mode 1
		.amdhsa_fp16_overflow 0
		.amdhsa_tg_split 0
		.amdhsa_exception_fp_ieee_invalid_op 0
		.amdhsa_exception_fp_denorm_src 0
		.amdhsa_exception_fp_ieee_div_zero 0
		.amdhsa_exception_fp_ieee_overflow 0
		.amdhsa_exception_fp_ieee_underflow 0
		.amdhsa_exception_fp_ieee_inexact 0
		.amdhsa_exception_int_div_zero 0
	.end_amdhsa_kernel
	.section	.text._Z12wvSplitK_hf_I14__hip_bfloat16Li64ELi2ELi16ELi8ELi2ELi2EEviiPKT_S3_PS1_ii,"axG",@progbits,_Z12wvSplitK_hf_I14__hip_bfloat16Li64ELi2ELi16ELi8ELi2ELi2EEviiPKT_S3_PS1_ii,comdat
.Lfunc_end24:
	.size	_Z12wvSplitK_hf_I14__hip_bfloat16Li64ELi2ELi16ELi8ELi2ELi2EEviiPKT_S3_PS1_ii, .Lfunc_end24-_Z12wvSplitK_hf_I14__hip_bfloat16Li64ELi2ELi16ELi8ELi2ELi2EEviiPKT_S3_PS1_ii
                                        ; -- End function
	.section	.AMDGPU.csdata,"",@progbits
; Kernel info:
; codeLenInByte = 3588
; NumSgprs: 35
; NumVgprs: 84
; NumAgprs: 0
; TotalNumVgprs: 84
; ScratchSize: 0
; MemoryBound: 0
; FloatMode: 240
; IeeeMode: 1
; LDSByteSize: 65536 bytes/workgroup (compile time only)
; SGPRBlocks: 4
; VGPRBlocks: 10
; NumSGPRsForWavesPerEU: 35
; NumVGPRsForWavesPerEU: 84
; AccumOffset: 84
; Occupancy: 4
; WaveLimiterHint : 0
; COMPUTE_PGM_RSRC2:SCRATCH_EN: 0
; COMPUTE_PGM_RSRC2:USER_SGPR: 6
; COMPUTE_PGM_RSRC2:TRAP_HANDLER: 0
; COMPUTE_PGM_RSRC2:TGID_X_EN: 1
; COMPUTE_PGM_RSRC2:TGID_Y_EN: 0
; COMPUTE_PGM_RSRC2:TGID_Z_EN: 0
; COMPUTE_PGM_RSRC2:TIDIG_COMP_CNT: 1
; COMPUTE_PGM_RSRC3_GFX90A:ACCUM_OFFSET: 20
; COMPUTE_PGM_RSRC3_GFX90A:TG_SPLIT: 0
	.section	.text._Z16wvSplitK_hf_big_I14__hip_bfloat16Li64ELi2ELi16ELi8ELi2ELi2EEviiPKT_S3_PS1_ii,"axG",@progbits,_Z16wvSplitK_hf_big_I14__hip_bfloat16Li64ELi2ELi16ELi8ELi2ELi2EEviiPKT_S3_PS1_ii,comdat
	.protected	_Z16wvSplitK_hf_big_I14__hip_bfloat16Li64ELi2ELi16ELi8ELi2ELi2EEviiPKT_S3_PS1_ii ; -- Begin function _Z16wvSplitK_hf_big_I14__hip_bfloat16Li64ELi2ELi16ELi8ELi2ELi2EEviiPKT_S3_PS1_ii
	.globl	_Z16wvSplitK_hf_big_I14__hip_bfloat16Li64ELi2ELi16ELi8ELi2ELi2EEviiPKT_S3_PS1_ii
	.p2align	8
	.type	_Z16wvSplitK_hf_big_I14__hip_bfloat16Li64ELi2ELi16ELi8ELi2ELi2EEviiPKT_S3_PS1_ii,@function
_Z16wvSplitK_hf_big_I14__hip_bfloat16Li64ELi2ELi16ELi8ELi2ELi2EEviiPKT_S3_PS1_ii: ; @_Z16wvSplitK_hf_big_I14__hip_bfloat16Li64ELi2ELi16ELi8ELi2ELi2EEviiPKT_S3_PS1_ii
; %bb.0:
	s_load_dwordx2 s[2:3], s[4:5], 0x20
	v_bfe_u32 v1, v0, 10, 10
	s_waitcnt lgkmcnt(0)
	v_cmp_gt_u32_e32 vcc, s2, v1
	s_and_saveexec_b64 s[0:1], vcc
	s_cbranch_execz .LBB25_71
; %bb.1:
	s_load_dwordx2 s[10:11], s[4:5], 0x0
	s_mul_i32 s0, s6, s2
	v_add_lshl_u32 v34, s0, v1, 1
	s_mov_b32 s6, 1
	v_add_u32_e32 v2, 2, v34
	s_waitcnt lgkmcnt(0)
	v_cmp_gt_u32_e32 vcc, s11, v34
	v_cmp_le_u32_e64 s[0:1], s11, v2
	s_mov_b32 s7, s6
	s_and_b64 s[8:9], vcc, s[0:1]
	v_pk_mov_b32 v[32:33], s[6:7], s[6:7] op_sel:[0,1]
	s_and_saveexec_b64 s[0:1], s[8:9]
	s_cbranch_execz .LBB25_7
; %bb.2:
	s_add_i32 s16, s11, -2
	v_cmp_ne_u32_e32 vcc, s16, v34
	v_pk_mov_b32 v[32:33], s[6:7], s[6:7] op_sel:[0,1]
	s_and_saveexec_b64 s[6:7], vcc
	s_cbranch_execz .LBB25_6
; %bb.3:
	v_subrev_u32_e32 v2, s16, v34
	s_mov_b32 s8, 1
	v_cmp_lt_u32_e32 vcc, 1, v2
	v_cndmask_b32_e32 v2, 1, v2, vcc
	s_mov_b64 s[12:13], 0
	s_mov_b64 s[14:15], 0
	s_mov_b32 s9, s8
.LBB25_4:                               ; =>This Inner Loop Header: Depth=1
	s_cmp_lg_u32 s14, 1
	s_cselect_b32 s9, s9, 0
	s_cmp_lg_u32 s14, 0
	s_cselect_b32 s8, s8, 0
	s_add_u32 s14, s14, 1
	s_addc_u32 s15, s15, 0
	v_cmp_eq_u32_e32 vcc, s14, v2
	s_or_b64 s[12:13], vcc, s[12:13]
	v_pk_mov_b32 v[32:33], s[8:9], s[8:9] op_sel:[0,1]
	s_andn2_b64 exec, exec, s[12:13]
	s_cbranch_execnz .LBB25_4
; %bb.5:
	s_or_b64 exec, exec, s[12:13]
	v_mov_b32_e32 v34, s16
.LBB25_6:
	s_or_b64 exec, exec, s[6:7]
.LBB25_7:
	s_or_b64 exec, exec, s[0:1]
	s_lshl_b32 s0, s2, 1
	s_abs_i32 s1, s0
	v_cvt_f32_u32_e32 v2, s1
	s_sub_i32 s8, 0, s1
	s_abs_i32 s7, s11
	s_ashr_i32 s6, s11, 31
	v_rcp_iflag_f32_e32 v2, v2
	v_mul_f32_e32 v2, 0x4f7ffffe, v2
	v_cvt_u32_f32_e32 v2, v2
	v_readfirstlane_b32 s9, v2
	s_mul_i32 s8, s8, s9
	s_mul_hi_u32 s8, s9, s8
	s_add_i32 s9, s9, s8
	s_mul_hi_u32 s8, s7, s9
	s_mul_i32 s8, s8, s1
	s_sub_i32 s7, s7, s8
	s_sub_i32 s8, s7, s1
	s_cmp_ge_u32 s7, s1
	s_cselect_b32 s7, s8, s7
	s_sub_i32 s8, s7, s1
	s_cmp_ge_u32 s7, s1
	s_cselect_b32 s1, s8, s7
	s_xor_b32 s1, s1, s6
	s_sub_i32 s1, s1, s6
	s_add_i32 s0, s0, s11
	s_sub_i32 s0, s0, s1
	s_cmp_eq_u32 s1, 0
	s_cselect_b32 s30, s11, s0
	v_cmp_gt_u32_e32 vcc, s30, v34
	s_and_b64 exec, exec, vcc
	s_cbranch_execz .LBB25_71
; %bb.8:
	s_load_dwordx4 s[12:15], s[4:5], 0x8
	s_load_dwordx2 s[16:17], s[4:5], 0x18
	s_mov_b32 s0, 0
	v_cvt_f64_i32_e32 v[2:3], s10
	s_mov_b32 s1, 0x40d00000
	v_min_f64 v[2:3], v[2:3], s[0:1]
	s_cmp_lg_u32 s10, 0
	v_and_b32_e32 v0, 0x3ff, v0
	s_mul_i32 s0, s3, s2
	v_cvt_u32_f64_e32 v2, v[2:3]
	v_lshlrev_b32_e32 v42, 3, v0
	s_cselect_b64 s[4:5], -1, 0
	s_lshl_b32 s33, s2, 9
	s_lshl_b32 s34, s0, 1
	v_cmp_eq_u32_e64 s[0:1], 63, v0
	s_add_i32 s35, s11, -2
	s_ashr_i32 s7, s10, 31
	v_lshlrev_b32_e32 v0, 4, v0
	s_waitcnt lgkmcnt(0)
	s_add_u32 s36, s16, 2
	v_lshl_add_u32 v44, v1, 10, v0
	v_cndmask_b32_e64 v0, 0, 1, s[4:5]
	v_cmp_ne_u32_e32 vcc, 0, v2
	s_mov_b32 s6, s10
	s_addc_u32 s37, s17, 0
	s_lshl_b32 s38, s2, 10
	v_lshl_add_u32 v45, v1, 9, v42
	v_cmp_ne_u32_e64 s[2:3], 1, v0
	v_cndmask_b32_e64 v0, 0, 1, vcc
	v_readfirstlane_b32 s31, v2
	v_lshlrev_b32_e32 v43, 1, v2
	v_add_u32_e32 v46, s10, v45
	s_mov_b64 s[18:19], 0
	v_cmp_ne_u32_e64 s[4:5], 1, v0
	v_mov_b32_e32 v37, 0
	s_lshl_b64 s[20:21], s[6:7], 1
	s_mov_b32 s39, 0x7f800000
	s_movk_i32 s40, 0x7fff
                                        ; implicit-def: $vgpr16_vgpr17_vgpr18_vgpr19
                                        ; implicit-def: $vgpr24_vgpr25_vgpr26_vgpr27
                                        ; implicit-def: $vgpr8_vgpr9_vgpr10_vgpr11
                                        ; implicit-def: $vgpr12_vgpr13_vgpr14_vgpr15
                                        ; implicit-def: $vgpr7
                                        ; implicit-def: $vgpr3
                                        ; implicit-def: $vgpr23
                                        ; implicit-def: $vgpr31
	s_branch .LBB25_12
.LBB25_9:                               ;   in Loop: Header=BB25_12 Depth=1
	s_or_b64 exec, exec, s[24:25]
	v_mov_b32_e32 v34, s35
.LBB25_10:                              ;   in Loop: Header=BB25_12 Depth=1
	s_or_b64 exec, exec, s[8:9]
.LBB25_11:                              ;   in Loop: Header=BB25_12 Depth=1
	s_or_b64 exec, exec, s[22:23]
	v_cmp_le_u32_e32 vcc, s30, v34
	s_or_b64 s[18:19], vcc, s[18:19]
	s_andn2_b64 exec, exec, s[18:19]
	s_cbranch_execz .LBB25_71
.LBB25_12:                              ; =>This Loop Header: Depth=1
                                        ;     Child Loop BB25_17 Depth 2
                                        ;       Child Loop BB25_21 Depth 3
                                        ;     Child Loop BB25_69 Depth 2
	s_and_b64 vcc, exec, s[2:3]
	s_cbranch_vccnz .LBB25_37
; %bb.13:                               ;   in Loop: Header=BB25_12 Depth=1
	v_mov_b32_e32 v38, 0
	v_cmp_gt_u32_e64 s[6:7], s11, v34
	v_mul_lo_u32 v35, v34, s10
	s_mov_b32 s28, 0
	s_mov_b32 s29, 0
	v_mov_b32_e32 v39, v38
	v_mov_b32_e32 v40, v38
	;; [unrolled: 1-line block ×3, first 2 shown]
	s_branch .LBB25_17
.LBB25_14:                              ;   in Loop: Header=BB25_17 Depth=2
	s_or_b64 exec, exec, s[24:25]
.LBB25_15:                              ;   in Loop: Header=BB25_17 Depth=2
	s_or_b64 exec, exec, s[8:9]
.LBB25_16:                              ;   in Loop: Header=BB25_17 Depth=2
	s_or_b64 exec, exec, s[22:23]
	s_addk_i32 s29, 0x400
	s_cmp_ge_u32 s29, s10
	s_cbranch_scc1 .LBB25_38
.LBB25_17:                              ;   Parent Loop BB25_12 Depth=1
                                        ; =>  This Loop Header: Depth=2
                                        ;       Child Loop BB25_21 Depth 3
	s_cmp_eq_u32 s29, 0
	s_cselect_b64 s[8:9], -1, 0
	s_add_i32 s22, s28, s31
	s_cmp_eq_u32 s29, s22
	s_cselect_b64 s[24:25], -1, 0
	s_or_b64 s[24:25], s[8:9], s[24:25]
	s_andn2_b64 vcc, exec, s[24:25]
	s_cbranch_vccnz .LBB25_25
; %bb.18:                               ;   in Loop: Header=BB25_17 Depth=2
	s_and_b64 s[8:9], s[8:9], exec
	s_cselect_b32 s28, s28, s22
	s_and_b64 vcc, exec, s[4:5]
	s_barrier
	s_cbranch_vccnz .LBB25_24
; %bb.19:                               ;   in Loop: Header=BB25_17 Depth=2
	v_add_u32_e32 v47, s28, v46
	v_add_u32_e32 v48, s28, v45
	s_mov_b32 s26, 0
	s_mov_b64 s[22:23], 0
	v_mov_b32_e32 v49, v44
                                        ; implicit-def: $sgpr24_sgpr25
	s_branch .LBB25_21
.LBB25_20:                              ;   in Loop: Header=BB25_21 Depth=3
	s_or_b64 exec, exec, s[8:9]
	s_and_b64 s[8:9], exec, s[24:25]
	s_or_b64 s[22:23], s[8:9], s[22:23]
	s_andn2_b64 exec, exec, s[22:23]
	s_cbranch_execz .LBB25_23
.LBB25_21:                              ;   Parent Loop BB25_12 Depth=1
                                        ;     Parent Loop BB25_17 Depth=2
                                        ; =>    This Inner Loop Header: Depth=3
	v_add_u32_e32 v50, s26, v45
	v_add_u32_e32 v36, s26, v48
	v_cmp_gt_u32_e32 vcc, s10, v36
	v_cmp_gt_u32_e64 s[8:9], s31, v50
	s_and_b64 s[42:43], vcc, s[8:9]
	s_or_b64 s[24:25], s[24:25], exec
	s_and_saveexec_b64 s[8:9], s[42:43]
	s_cbranch_execz .LBB25_20
; %bb.22:                               ;   in Loop: Header=BB25_21 Depth=3
	v_lshlrev_b64 v[50:51], 1, v[36:37]
	v_mov_b32_e32 v56, s15
	v_add_co_u32_e32 v50, vcc, s14, v50
	v_add_u32_e32 v36, s26, v47
	v_addc_co_u32_e32 v51, vcc, v56, v51, vcc
	v_lshlrev_b64 v[54:55], 1, v[36:37]
	v_add_co_u32_e32 v54, vcc, s14, v54
	global_load_dwordx4 v[50:53], v[50:51], off
	v_addc_co_u32_e32 v55, vcc, v56, v55, vcc
	global_load_dwordx4 v[54:57], v[54:55], off
	s_add_i32 s26, s26, s33
	s_cmp_ge_u32 s26, s31
	s_cselect_b64 s[42:43], -1, 0
	s_andn2_b64 s[24:25], s[24:25], exec
	s_and_b64 s[42:43], s[42:43], exec
	v_add_u32_e32 v36, v49, v43
	s_or_b64 s[24:25], s[24:25], s[42:43]
	s_waitcnt vmcnt(1)
	ds_write_b128 v49, v[50:53]
	v_add_u32_e32 v49, s38, v49
	s_waitcnt vmcnt(0)
	ds_write2_b64 v36, v[54:55], v[56:57] offset1:1
	s_branch .LBB25_20
.LBB25_23:                              ;   in Loop: Header=BB25_17 Depth=2
	s_or_b64 exec, exec, s[22:23]
.LBB25_24:                              ;   in Loop: Header=BB25_17 Depth=2
	s_waitcnt lgkmcnt(0)
	s_barrier
.LBB25_25:                              ;   in Loop: Header=BB25_17 Depth=2
	s_and_saveexec_b64 s[22:23], s[6:7]
	s_cbranch_execz .LBB25_16
; %bb.26:                               ;   in Loop: Header=BB25_17 Depth=2
	v_add_u32_e32 v47, s29, v42
	v_cmp_gt_u32_e32 vcc, s10, v47
	s_and_saveexec_b64 s[24:25], vcc
	s_cbranch_execnz .LBB25_29
; %bb.27:                               ;   in Loop: Header=BB25_17 Depth=2
	s_or_b64 exec, exec, s[24:25]
	s_and_saveexec_b64 s[24:25], vcc
	s_cbranch_execnz .LBB25_32
.LBB25_28:                              ;   in Loop: Header=BB25_17 Depth=2
	s_or_b64 exec, exec, s[24:25]
	s_and_saveexec_b64 s[8:9], vcc
	s_cbranch_execz .LBB25_15
	s_branch .LBB25_35
.LBB25_29:                              ;   in Loop: Header=BB25_17 Depth=2
	v_add_u32_e32 v36, v47, v35
	s_waitcnt vmcnt(1)
	v_lshlrev_b64 v[12:13], 1, v[36:37]
	v_mov_b32_e32 v14, s13
	v_add_co_u32_e64 v48, s[8:9], s12, v12
	v_addc_co_u32_e64 v49, s[8:9], v14, v13, s[8:9]
	v_mov_b32_e32 v12, s21
	v_add_co_u32_e64 v50, s[8:9], s20, v48
	v_addc_co_u32_e64 v51, s[8:9], v49, v12, s[8:9]
	global_load_dwordx4 v[12:15], v[48:49], off glc slc
	global_load_dwordx4 v[24:27], v[50:51], off glc slc
	v_add_u32_e32 v36, 0x200, v47
	v_cmp_gt_u32_e64 s[8:9], s10, v36
	s_and_saveexec_b64 s[26:27], s[8:9]
	s_cbranch_execz .LBB25_31
; %bb.30:                               ;   in Loop: Header=BB25_17 Depth=2
	v_add_u32_e32 v36, v36, v35
	v_lshlrev_b64 v[8:9], 1, v[36:37]
	v_mov_b32_e32 v10, s13
	v_add_co_u32_e64 v48, s[8:9], s12, v8
	v_addc_co_u32_e64 v49, s[8:9], v10, v9, s[8:9]
	v_mov_b32_e32 v8, s21
	v_add_co_u32_e64 v50, s[8:9], s20, v48
	v_addc_co_u32_e64 v51, s[8:9], v49, v8, s[8:9]
	global_load_dwordx4 v[8:11], v[48:49], off glc slc
	global_load_dwordx4 v[16:19], v[50:51], off glc slc
.LBB25_31:                              ;   in Loop: Header=BB25_17 Depth=2
	s_or_b64 exec, exec, s[26:27]
	s_or_b64 exec, exec, s[24:25]
	s_and_saveexec_b64 s[24:25], vcc
	s_cbranch_execz .LBB25_28
.LBB25_32:                              ;   in Loop: Header=BB25_17 Depth=2
	s_waitcnt lgkmcnt(0)
	v_subrev_u32_e32 v20, s28, v47
	v_lshlrev_b32_e32 v48, 1, v20
	v_lshl_add_u32 v36, s31, 1, v48
	ds_read_b128 v[28:31], v48
	ds_read_b128 v[20:23], v36
	v_add_u32_e32 v49, 0x200, v47
	v_cmp_gt_u32_e64 s[8:9], s10, v49
	s_and_saveexec_b64 s[26:27], s[8:9]
	s_cbranch_execz .LBB25_34
; %bb.33:                               ;   in Loop: Header=BB25_17 Depth=2
	ds_read_b128 v[0:3], v48 offset:1024
	ds_read_b128 v[4:7], v36 offset:1024
.LBB25_34:                              ;   in Loop: Header=BB25_17 Depth=2
	s_or_b64 exec, exec, s[26:27]
	s_or_b64 exec, exec, s[24:25]
	s_and_saveexec_b64 s[8:9], vcc
	s_cbranch_execz .LBB25_15
.LBB25_35:                              ;   in Loop: Header=BB25_17 Depth=2
	s_waitcnt lgkmcnt(1)
	v_and_b32_e32 v49, 0xffff0000, v28
	v_lshlrev_b32_e32 v48, 16, v28
	s_waitcnt vmcnt(1)
	v_and_b32_e32 v51, 0xffff0000, v12
	v_lshlrev_b32_e32 v50, 16, v12
	s_waitcnt vmcnt(0)
	v_and_b32_e32 v73, 0xffff0000, v24
	v_lshlrev_b32_e32 v72, 16, v24
	v_pk_mul_f32 v[52:53], v[48:49], v[50:51]
	v_pk_mul_f32 v[48:49], v[48:49], v[72:73]
	v_and_b32_e32 v55, 0xffff0000, v29
	v_lshlrev_b32_e32 v54, 16, v29
	v_and_b32_e32 v57, 0xffff0000, v13
	v_lshlrev_b32_e32 v56, 16, v13
	;; [unrolled: 2-line block ×3, first 2 shown]
	v_mov_b32_e32 v80, v48
	v_mov_b32_e32 v81, v52
	v_mov_b32_e32 v52, v49
	v_pk_mul_f32 v[58:59], v[54:55], v[56:57]
	v_pk_mul_f32 v[54:55], v[54:55], v[74:75]
	v_pk_add_f32 v[48:49], v[80:81], v[52:53]
	v_and_b32_e32 v61, 0xffff0000, v30
	v_lshlrev_b32_e32 v60, 16, v30
	v_and_b32_e32 v63, 0xffff0000, v14
	v_lshlrev_b32_e32 v62, 16, v14
	;; [unrolled: 2-line block ×3, first 2 shown]
	v_pk_add_f32 v[40:41], v[40:41], v[48:49]
	v_mov_b32_e32 v48, v54
	v_mov_b32_e32 v49, v58
	;; [unrolled: 1-line block ×3, first 2 shown]
	v_pk_mul_f32 v[64:65], v[60:61], v[62:63]
	v_pk_mul_f32 v[60:61], v[60:61], v[76:77]
	v_pk_add_f32 v[48:49], v[48:49], v[58:59]
	v_and_b32_e32 v67, 0xffff0000, v31
	v_lshlrev_b32_e32 v66, 16, v31
	v_and_b32_e32 v69, 0xffff0000, v15
	v_lshlrev_b32_e32 v68, 16, v15
	;; [unrolled: 2-line block ×3, first 2 shown]
	v_pk_add_f32 v[40:41], v[40:41], v[48:49]
	v_mov_b32_e32 v48, v60
	v_mov_b32_e32 v49, v64
	;; [unrolled: 1-line block ×3, first 2 shown]
	v_pk_mul_f32 v[70:71], v[66:67], v[68:69]
	v_pk_mul_f32 v[66:67], v[66:67], v[78:79]
	v_pk_add_f32 v[48:49], v[48:49], v[64:65]
	v_pk_add_f32 v[40:41], v[40:41], v[48:49]
	v_mov_b32_e32 v48, v66
	v_mov_b32_e32 v49, v70
	;; [unrolled: 1-line block ×3, first 2 shown]
	v_pk_add_f32 v[48:49], v[48:49], v[70:71]
	v_pk_add_f32 v[40:41], v[40:41], v[48:49]
	s_waitcnt lgkmcnt(0)
	v_and_b32_e32 v49, 0xffff0000, v20
	v_lshlrev_b32_e32 v48, 16, v20
	v_pk_mul_f32 v[50:51], v[48:49], v[50:51]
	v_pk_mul_f32 v[48:49], v[48:49], v[72:73]
	v_and_b32_e32 v53, 0xffff0000, v21
	v_lshlrev_b32_e32 v52, 16, v21
	v_mov_b32_e32 v64, v48
	v_mov_b32_e32 v65, v50
	;; [unrolled: 1-line block ×3, first 2 shown]
	v_pk_mul_f32 v[54:55], v[52:53], v[56:57]
	v_pk_mul_f32 v[52:53], v[52:53], v[74:75]
	v_pk_add_f32 v[48:49], v[64:65], v[50:51]
	v_and_b32_e32 v57, 0xffff0000, v22
	v_lshlrev_b32_e32 v56, 16, v22
	v_pk_add_f32 v[38:39], v[38:39], v[48:49]
	v_mov_b32_e32 v48, v52
	v_mov_b32_e32 v49, v54
	;; [unrolled: 1-line block ×3, first 2 shown]
	v_pk_mul_f32 v[58:59], v[56:57], v[62:63]
	v_pk_mul_f32 v[56:57], v[56:57], v[76:77]
	v_pk_add_f32 v[48:49], v[48:49], v[54:55]
	v_and_b32_e32 v61, 0xffff0000, v23
	v_lshlrev_b32_e32 v60, 16, v23
	v_pk_add_f32 v[38:39], v[38:39], v[48:49]
	v_mov_b32_e32 v48, v56
	v_mov_b32_e32 v49, v58
	;; [unrolled: 1-line block ×3, first 2 shown]
	v_pk_mul_f32 v[62:63], v[60:61], v[68:69]
	v_pk_mul_f32 v[60:61], v[60:61], v[78:79]
	v_pk_add_f32 v[48:49], v[48:49], v[58:59]
	v_pk_add_f32 v[38:39], v[38:39], v[48:49]
	v_mov_b32_e32 v48, v60
	v_mov_b32_e32 v49, v62
	;; [unrolled: 1-line block ×3, first 2 shown]
	v_pk_add_f32 v[48:49], v[48:49], v[62:63]
	v_add_u32_e32 v36, 0x200, v47
	v_pk_add_f32 v[38:39], v[38:39], v[48:49]
	v_cmp_gt_u32_e32 vcc, s10, v36
	s_and_saveexec_b64 s[24:25], vcc
	s_cbranch_execz .LBB25_14
; %bb.36:                               ;   in Loop: Header=BB25_17 Depth=2
	v_and_b32_e32 v49, 0xffff0000, v0
	v_lshlrev_b32_e32 v48, 16, v0
	v_and_b32_e32 v51, 0xffff0000, v8
	v_lshlrev_b32_e32 v50, 16, v8
	;; [unrolled: 2-line block ×3, first 2 shown]
	v_pk_mul_f32 v[52:53], v[48:49], v[50:51]
	v_pk_mul_f32 v[48:49], v[48:49], v[72:73]
	v_and_b32_e32 v55, 0xffff0000, v1
	v_lshlrev_b32_e32 v54, 16, v1
	v_and_b32_e32 v57, 0xffff0000, v9
	v_lshlrev_b32_e32 v56, 16, v9
	;; [unrolled: 2-line block ×3, first 2 shown]
	v_mov_b32_e32 v80, v48
	v_mov_b32_e32 v81, v52
	;; [unrolled: 1-line block ×3, first 2 shown]
	v_pk_mul_f32 v[58:59], v[54:55], v[56:57]
	v_pk_mul_f32 v[54:55], v[54:55], v[74:75]
	v_pk_add_f32 v[48:49], v[80:81], v[52:53]
	v_and_b32_e32 v61, 0xffff0000, v2
	v_lshlrev_b32_e32 v60, 16, v2
	v_and_b32_e32 v63, 0xffff0000, v10
	v_lshlrev_b32_e32 v62, 16, v10
	;; [unrolled: 2-line block ×3, first 2 shown]
	v_pk_add_f32 v[40:41], v[40:41], v[48:49]
	v_mov_b32_e32 v48, v54
	v_mov_b32_e32 v49, v58
	;; [unrolled: 1-line block ×3, first 2 shown]
	v_pk_mul_f32 v[64:65], v[60:61], v[62:63]
	v_pk_mul_f32 v[60:61], v[60:61], v[76:77]
	v_pk_add_f32 v[48:49], v[48:49], v[58:59]
	v_and_b32_e32 v67, 0xffff0000, v3
	v_lshlrev_b32_e32 v66, 16, v3
	v_and_b32_e32 v69, 0xffff0000, v11
	v_lshlrev_b32_e32 v68, 16, v11
	;; [unrolled: 2-line block ×3, first 2 shown]
	v_pk_add_f32 v[40:41], v[40:41], v[48:49]
	v_mov_b32_e32 v48, v60
	v_mov_b32_e32 v49, v64
	;; [unrolled: 1-line block ×3, first 2 shown]
	v_pk_mul_f32 v[70:71], v[66:67], v[68:69]
	v_pk_mul_f32 v[66:67], v[66:67], v[78:79]
	v_pk_add_f32 v[48:49], v[48:49], v[64:65]
	v_pk_add_f32 v[40:41], v[40:41], v[48:49]
	v_mov_b32_e32 v48, v66
	v_mov_b32_e32 v49, v70
	;; [unrolled: 1-line block ×3, first 2 shown]
	v_pk_add_f32 v[48:49], v[48:49], v[70:71]
	v_pk_add_f32 v[40:41], v[40:41], v[48:49]
	v_and_b32_e32 v49, 0xffff0000, v4
	v_lshlrev_b32_e32 v48, 16, v4
	v_pk_mul_f32 v[50:51], v[48:49], v[50:51]
	v_pk_mul_f32 v[48:49], v[48:49], v[72:73]
	v_and_b32_e32 v53, 0xffff0000, v5
	v_lshlrev_b32_e32 v52, 16, v5
	v_mov_b32_e32 v64, v48
	v_mov_b32_e32 v65, v50
	;; [unrolled: 1-line block ×3, first 2 shown]
	v_pk_mul_f32 v[54:55], v[52:53], v[56:57]
	v_pk_mul_f32 v[52:53], v[52:53], v[74:75]
	v_pk_add_f32 v[48:49], v[64:65], v[50:51]
	v_and_b32_e32 v57, 0xffff0000, v6
	v_lshlrev_b32_e32 v56, 16, v6
	v_pk_add_f32 v[38:39], v[38:39], v[48:49]
	v_mov_b32_e32 v48, v52
	v_mov_b32_e32 v49, v54
	;; [unrolled: 1-line block ×3, first 2 shown]
	v_pk_mul_f32 v[58:59], v[56:57], v[62:63]
	v_pk_mul_f32 v[56:57], v[56:57], v[76:77]
	v_pk_add_f32 v[48:49], v[48:49], v[54:55]
	v_and_b32_e32 v61, 0xffff0000, v7
	v_lshlrev_b32_e32 v60, 16, v7
	v_pk_add_f32 v[38:39], v[38:39], v[48:49]
	v_mov_b32_e32 v48, v56
	v_mov_b32_e32 v49, v58
	;; [unrolled: 1-line block ×3, first 2 shown]
	v_pk_mul_f32 v[62:63], v[60:61], v[68:69]
	v_pk_mul_f32 v[60:61], v[60:61], v[78:79]
	v_pk_add_f32 v[48:49], v[48:49], v[58:59]
	v_pk_add_f32 v[38:39], v[38:39], v[48:49]
	v_mov_b32_e32 v48, v60
	v_mov_b32_e32 v49, v62
	;; [unrolled: 1-line block ×3, first 2 shown]
	v_pk_add_f32 v[48:49], v[48:49], v[62:63]
	v_pk_add_f32 v[38:39], v[38:39], v[48:49]
	s_branch .LBB25_14
.LBB25_37:                              ;   in Loop: Header=BB25_12 Depth=1
	v_mov_b32_e32 v41, v37
	v_mov_b32_e32 v40, v37
	;; [unrolled: 1-line block ×4, first 2 shown]
.LBB25_38:                              ;   in Loop: Header=BB25_12 Depth=1
	v_cmp_le_u32_e32 vcc, s11, v34
	s_and_saveexec_b64 s[6:7], vcc
	s_xor_b64 s[6:7], exec, s[6:7]
; %bb.39:                               ;   in Loop: Header=BB25_12 Depth=1
	v_add_u32_e32 v34, s34, v34
                                        ; implicit-def: $vgpr41
                                        ; implicit-def: $vgpr39
; %bb.40:                               ;   in Loop: Header=BB25_12 Depth=1
	s_andn2_saveexec_b64 s[22:23], s[6:7]
	s_cbranch_execz .LBB25_11
; %bb.41:                               ;   in Loop: Header=BB25_12 Depth=1
	;;#ASMSTART
	s_nop 0
	v_add_f32 v41, v41, v41 row_shr:8 bound_ctrl:0 
	;;#ASMEND
	;;#ASMSTART
	s_nop 0
	v_add_f32 v40, v40, v40 row_shr:8 bound_ctrl:0 
	;;#ASMEND
	;; [unrolled: 4-line block ×12, first 2 shown]
	;;#ASMSTART
	s_nop 0
	v_add_f32 v41, v41, v41 wave_shr:1 bound_ctrl:0
	;;#ASMEND
	;;#ASMSTART
	s_nop 0
	v_add_f32 v40, v40, v40 wave_shr:1 bound_ctrl:0
	;;#ASMEND
	;;#ASMSTART
	s_nop 0
	v_add_f32 v39, v39, v39 wave_shr:1 bound_ctrl:0
	;;#ASMEND
	;;#ASMSTART
	s_nop 0
	v_add_f32 v38, v38, v38 wave_shr:1 bound_ctrl:0
	;;#ASMEND
	;;#ASMSTART
	s_nop 0
	v_add_f32 v41, v41, v41 row_bcast:15 bound_ctrl:0
	;;#ASMEND
	;;#ASMSTART
	s_nop 0
	v_add_f32 v40, v40, v40 row_bcast:15 bound_ctrl:0
	;;#ASMEND
	;; [unrolled: 4-line block ×8, first 2 shown]
	s_and_saveexec_b64 s[24:25], s[0:1]
	s_cbranch_execz .LBB25_66
; %bb.42:                               ;   in Loop: Header=BB25_12 Depth=1
	v_cmp_ne_u32_e32 vcc, 0, v32
	s_and_saveexec_b64 s[8:9], vcc
	s_cbranch_execnz .LBB25_46
; %bb.43:                               ;   in Loop: Header=BB25_12 Depth=1
	s_or_b64 exec, exec, s[8:9]
	v_cmp_ne_u32_e64 s[6:7], 0, v33
	s_and_saveexec_b64 s[26:27], s[6:7]
	s_cbranch_execnz .LBB25_51
.LBB25_44:                              ;   in Loop: Header=BB25_12 Depth=1
	s_or_b64 exec, exec, s[26:27]
	v_add_u32_e32 v36, s11, v34
	s_and_saveexec_b64 s[8:9], vcc
	s_cbranch_execnz .LBB25_56
.LBB25_45:                              ;   in Loop: Header=BB25_12 Depth=1
	s_or_b64 exec, exec, s[8:9]
	s_and_b64 exec, exec, s[6:7]
	s_cbranch_execnz .LBB25_61
	s_branch .LBB25_66
.LBB25_46:                              ;   in Loop: Header=BB25_12 Depth=1
	v_and_b32_e32 v35, 0x7f800000, v41
	v_cmp_ne_u32_e64 s[6:7], s39, v35
                                        ; implicit-def: $vgpr36
	s_and_saveexec_b64 s[26:27], s[6:7]
	s_xor_b64 s[6:7], exec, s[26:27]
; %bb.47:                               ;   in Loop: Header=BB25_12 Depth=1
	v_bfe_u32 v35, v41, 16, 1
	v_add3_u32 v36, v41, v35, s40
; %bb.48:                               ;   in Loop: Header=BB25_12 Depth=1
	s_andn2_saveexec_b64 s[26:27], s[6:7]
; %bb.49:                               ;   in Loop: Header=BB25_12 Depth=1
	v_or_b32_e32 v35, 0x10000, v41
	v_cmp_eq_u32_sdwa s[6:7], v41, v37 src0_sel:WORD_0 src1_sel:DWORD
	v_cndmask_b32_e64 v36, v35, v41, s[6:7]
; %bb.50:                               ;   in Loop: Header=BB25_12 Depth=1
	s_or_b64 exec, exec, s[26:27]
	v_mov_b32_e32 v35, v37
	v_lshlrev_b64 v[48:49], 1, v[34:35]
	v_mov_b32_e32 v35, s17
	v_add_co_u32_e64 v48, s[6:7], s16, v48
	v_addc_co_u32_e64 v49, s[6:7], v35, v49, s[6:7]
	global_store_short_d16_hi v[48:49], v36, off
	s_or_b64 exec, exec, s[8:9]
	v_cmp_ne_u32_e64 s[6:7], 0, v33
	s_and_saveexec_b64 s[26:27], s[6:7]
	s_cbranch_execz .LBB25_44
.LBB25_51:                              ;   in Loop: Header=BB25_12 Depth=1
	v_and_b32_e32 v35, 0x7f800000, v40
	v_cmp_ne_u32_e64 s[8:9], s39, v35
                                        ; implicit-def: $vgpr36
	s_and_saveexec_b64 s[28:29], s[8:9]
	s_xor_b64 s[8:9], exec, s[28:29]
; %bb.52:                               ;   in Loop: Header=BB25_12 Depth=1
	v_bfe_u32 v35, v40, 16, 1
	v_add3_u32 v36, v40, v35, s40
                                        ; implicit-def: $vgpr40
; %bb.53:                               ;   in Loop: Header=BB25_12 Depth=1
	s_andn2_saveexec_b64 s[28:29], s[8:9]
; %bb.54:                               ;   in Loop: Header=BB25_12 Depth=1
	v_or_b32_e32 v35, 0x10000, v40
	v_cmp_eq_u32_sdwa s[8:9], v40, v37 src0_sel:WORD_0 src1_sel:DWORD
	v_cndmask_b32_e64 v36, v35, v40, s[8:9]
; %bb.55:                               ;   in Loop: Header=BB25_12 Depth=1
	s_or_b64 exec, exec, s[28:29]
	v_mov_b32_e32 v35, v37
	v_lshlrev_b64 v[40:41], 1, v[34:35]
	v_mov_b32_e32 v35, s37
	v_add_co_u32_e64 v40, s[8:9], s36, v40
	v_addc_co_u32_e64 v41, s[8:9], v35, v41, s[8:9]
	global_store_short_d16_hi v[40:41], v36, off
	s_or_b64 exec, exec, s[26:27]
	v_add_u32_e32 v36, s11, v34
	s_and_saveexec_b64 s[8:9], vcc
	s_cbranch_execz .LBB25_45
.LBB25_56:                              ;   in Loop: Header=BB25_12 Depth=1
	v_and_b32_e32 v35, 0x7f800000, v39
	v_cmp_ne_u32_e32 vcc, s39, v35
                                        ; implicit-def: $vgpr35
	s_and_saveexec_b64 s[26:27], vcc
	s_xor_b64 s[26:27], exec, s[26:27]
; %bb.57:                               ;   in Loop: Header=BB25_12 Depth=1
	v_bfe_u32 v35, v39, 16, 1
	v_add3_u32 v35, v39, v35, s40
; %bb.58:                               ;   in Loop: Header=BB25_12 Depth=1
	s_andn2_saveexec_b64 s[26:27], s[26:27]
; %bb.59:                               ;   in Loop: Header=BB25_12 Depth=1
	v_or_b32_e32 v35, 0x10000, v39
	v_cmp_eq_u32_sdwa vcc, v39, v37 src0_sel:WORD_0 src1_sel:DWORD
	v_cndmask_b32_e32 v35, v35, v39, vcc
; %bb.60:                               ;   in Loop: Header=BB25_12 Depth=1
	s_or_b64 exec, exec, s[26:27]
	v_lshlrev_b64 v[40:41], 1, v[36:37]
	v_mov_b32_e32 v39, s17
	v_add_co_u32_e32 v40, vcc, s16, v40
	v_addc_co_u32_e32 v41, vcc, v39, v41, vcc
	global_store_short_d16_hi v[40:41], v35, off
	s_or_b64 exec, exec, s[8:9]
	s_and_b64 exec, exec, s[6:7]
	s_cbranch_execz .LBB25_66
.LBB25_61:                              ;   in Loop: Header=BB25_12 Depth=1
	v_and_b32_e32 v35, 0x7f800000, v38
	v_cmp_ne_u32_e32 vcc, s39, v35
                                        ; implicit-def: $vgpr35
	s_and_saveexec_b64 s[6:7], vcc
	s_xor_b64 s[6:7], exec, s[6:7]
; %bb.62:                               ;   in Loop: Header=BB25_12 Depth=1
	v_bfe_u32 v35, v38, 16, 1
	v_add3_u32 v35, v38, v35, s40
                                        ; implicit-def: $vgpr38
; %bb.63:                               ;   in Loop: Header=BB25_12 Depth=1
	s_andn2_saveexec_b64 s[6:7], s[6:7]
; %bb.64:                               ;   in Loop: Header=BB25_12 Depth=1
	v_or_b32_e32 v35, 0x10000, v38
	v_cmp_eq_u32_sdwa vcc, v38, v37 src0_sel:WORD_0 src1_sel:DWORD
	v_cndmask_b32_e32 v35, v35, v38, vcc
; %bb.65:                               ;   in Loop: Header=BB25_12 Depth=1
	s_or_b64 exec, exec, s[6:7]
	v_add_u32_e32 v36, 1, v36
	v_lshlrev_b64 v[38:39], 1, v[36:37]
	v_mov_b32_e32 v36, s17
	v_add_co_u32_e32 v38, vcc, s16, v38
	v_addc_co_u32_e32 v39, vcc, v36, v39, vcc
	global_store_short_d16_hi v[38:39], v35, off
.LBB25_66:                              ;   in Loop: Header=BB25_12 Depth=1
	s_or_b64 exec, exec, s[24:25]
	v_add_u32_e32 v34, s34, v34
	v_add_u32_e32 v35, 2, v34
	v_cmp_gt_u32_e32 vcc, s11, v34
	v_cmp_le_u32_e64 s[6:7], s11, v35
	s_and_b64 s[6:7], vcc, s[6:7]
	s_and_saveexec_b64 s[8:9], s[6:7]
	s_cbranch_execz .LBB25_10
; %bb.67:                               ;   in Loop: Header=BB25_12 Depth=1
	v_cmp_ne_u32_e32 vcc, s35, v34
	s_and_saveexec_b64 s[24:25], vcc
	s_cbranch_execz .LBB25_9
; %bb.68:                               ;   in Loop: Header=BB25_12 Depth=1
	v_subrev_u32_e32 v34, s35, v34
	v_cmp_lt_u32_e32 vcc, 1, v34
	v_cndmask_b32_e32 v34, 1, v34, vcc
	s_mov_b64 s[26:27], 0
	s_mov_b64 s[28:29], 0
.LBB25_69:                              ;   Parent Loop BB25_12 Depth=1
                                        ; =>  This Inner Loop Header: Depth=2
	s_cmp_lg_u32 s28, 1
	s_cselect_b64 vcc, -1, 0
	s_cmp_lg_u32 s28, 0
	v_cndmask_b32_e32 v33, 0, v33, vcc
	s_cselect_b64 vcc, -1, 0
	s_add_u32 s28, s28, 1
	s_addc_u32 s29, s29, 0
	v_cmp_eq_u32_e64 s[6:7], s28, v34
	s_or_b64 s[26:27], s[6:7], s[26:27]
	v_cndmask_b32_e32 v32, 0, v32, vcc
	s_andn2_b64 exec, exec, s[26:27]
	s_cbranch_execnz .LBB25_69
; %bb.70:                               ;   in Loop: Header=BB25_12 Depth=1
	s_or_b64 exec, exec, s[26:27]
	s_branch .LBB25_9
.LBB25_71:
	s_endpgm
	.section	.rodata,"a",@progbits
	.p2align	6, 0x0
	.amdhsa_kernel _Z16wvSplitK_hf_big_I14__hip_bfloat16Li64ELi2ELi16ELi8ELi2ELi2EEviiPKT_S3_PS1_ii
		.amdhsa_group_segment_fixed_size 65536
		.amdhsa_private_segment_fixed_size 0
		.amdhsa_kernarg_size 40
		.amdhsa_user_sgpr_count 6
		.amdhsa_user_sgpr_private_segment_buffer 1
		.amdhsa_user_sgpr_dispatch_ptr 0
		.amdhsa_user_sgpr_queue_ptr 0
		.amdhsa_user_sgpr_kernarg_segment_ptr 1
		.amdhsa_user_sgpr_dispatch_id 0
		.amdhsa_user_sgpr_flat_scratch_init 0
		.amdhsa_user_sgpr_kernarg_preload_length 0
		.amdhsa_user_sgpr_kernarg_preload_offset 0
		.amdhsa_user_sgpr_private_segment_size 0
		.amdhsa_uses_dynamic_stack 0
		.amdhsa_system_sgpr_private_segment_wavefront_offset 0
		.amdhsa_system_sgpr_workgroup_id_x 1
		.amdhsa_system_sgpr_workgroup_id_y 0
		.amdhsa_system_sgpr_workgroup_id_z 0
		.amdhsa_system_sgpr_workgroup_info 0
		.amdhsa_system_vgpr_workitem_id 1
		.amdhsa_next_free_vgpr 82
		.amdhsa_next_free_sgpr 44
		.amdhsa_accum_offset 84
		.amdhsa_reserve_vcc 1
		.amdhsa_reserve_flat_scratch 0
		.amdhsa_float_round_mode_32 0
		.amdhsa_float_round_mode_16_64 0
		.amdhsa_float_denorm_mode_32 3
		.amdhsa_float_denorm_mode_16_64 3
		.amdhsa_dx10_clamp 1
		.amdhsa_ieee_mode 1
		.amdhsa_fp16_overflow 0
		.amdhsa_tg_split 0
		.amdhsa_exception_fp_ieee_invalid_op 0
		.amdhsa_exception_fp_denorm_src 0
		.amdhsa_exception_fp_ieee_div_zero 0
		.amdhsa_exception_fp_ieee_overflow 0
		.amdhsa_exception_fp_ieee_underflow 0
		.amdhsa_exception_fp_ieee_inexact 0
		.amdhsa_exception_int_div_zero 0
	.end_amdhsa_kernel
	.section	.text._Z16wvSplitK_hf_big_I14__hip_bfloat16Li64ELi2ELi16ELi8ELi2ELi2EEviiPKT_S3_PS1_ii,"axG",@progbits,_Z16wvSplitK_hf_big_I14__hip_bfloat16Li64ELi2ELi16ELi8ELi2ELi2EEviiPKT_S3_PS1_ii,comdat
.Lfunc_end25:
	.size	_Z16wvSplitK_hf_big_I14__hip_bfloat16Li64ELi2ELi16ELi8ELi2ELi2EEviiPKT_S3_PS1_ii, .Lfunc_end25-_Z16wvSplitK_hf_big_I14__hip_bfloat16Li64ELi2ELi16ELi8ELi2ELi2EEviiPKT_S3_PS1_ii
                                        ; -- End function
	.section	.AMDGPU.csdata,"",@progbits
; Kernel info:
; codeLenInByte = 3460
; NumSgprs: 48
; NumVgprs: 82
; NumAgprs: 0
; TotalNumVgprs: 82
; ScratchSize: 0
; MemoryBound: 0
; FloatMode: 240
; IeeeMode: 1
; LDSByteSize: 65536 bytes/workgroup (compile time only)
; SGPRBlocks: 5
; VGPRBlocks: 10
; NumSGPRsForWavesPerEU: 48
; NumVGPRsForWavesPerEU: 82
; AccumOffset: 84
; Occupancy: 4
; WaveLimiterHint : 0
; COMPUTE_PGM_RSRC2:SCRATCH_EN: 0
; COMPUTE_PGM_RSRC2:USER_SGPR: 6
; COMPUTE_PGM_RSRC2:TRAP_HANDLER: 0
; COMPUTE_PGM_RSRC2:TGID_X_EN: 1
; COMPUTE_PGM_RSRC2:TGID_Y_EN: 0
; COMPUTE_PGM_RSRC2:TGID_Z_EN: 0
; COMPUTE_PGM_RSRC2:TIDIG_COMP_CNT: 1
; COMPUTE_PGM_RSRC3_GFX90A:ACCUM_OFFSET: 20
; COMPUTE_PGM_RSRC3_GFX90A:TG_SPLIT: 0
	.section	.text._Z16wvSplitK_hf_sml_I14__hip_bfloat16Li64ELi4ELi16ELi8ELi1ELi3EEviiPKT_S3_PS1_ii,"axG",@progbits,_Z16wvSplitK_hf_sml_I14__hip_bfloat16Li64ELi4ELi16ELi8ELi1ELi3EEviiPKT_S3_PS1_ii,comdat
	.protected	_Z16wvSplitK_hf_sml_I14__hip_bfloat16Li64ELi4ELi16ELi8ELi1ELi3EEviiPKT_S3_PS1_ii ; -- Begin function _Z16wvSplitK_hf_sml_I14__hip_bfloat16Li64ELi4ELi16ELi8ELi1ELi3EEviiPKT_S3_PS1_ii
	.globl	_Z16wvSplitK_hf_sml_I14__hip_bfloat16Li64ELi4ELi16ELi8ELi1ELi3EEviiPKT_S3_PS1_ii
	.p2align	8
	.type	_Z16wvSplitK_hf_sml_I14__hip_bfloat16Li64ELi4ELi16ELi8ELi1ELi3EEviiPKT_S3_PS1_ii,@function
_Z16wvSplitK_hf_sml_I14__hip_bfloat16Li64ELi4ELi16ELi8ELi1ELi3EEviiPKT_S3_PS1_ii: ; @_Z16wvSplitK_hf_sml_I14__hip_bfloat16Li64ELi4ELi16ELi8ELi1ELi3EEviiPKT_S3_PS1_ii
; %bb.0:
	s_load_dwordx2 s[8:9], s[4:5], 0x0
	v_and_b32_e32 v2, 0x3ff, v0
	v_bfe_u32 v3, v0, 10, 10
	v_lshlrev_b32_e32 v52, 3, v2
	s_mov_b32 s7, 0
	s_waitcnt lgkmcnt(0)
	s_cmp_lg_u32 s8, 0
	s_cselect_b64 s[2:3], -1, 0
	s_cmp_eq_u32 s8, 0
	s_cbranch_scc1 .LBB26_6
; %bb.1:
	s_load_dwordx2 s[0:1], s[4:5], 0x10
	s_mul_i32 s10, s8, 3
	v_lshlrev_b32_e32 v0, 4, v2
	s_min_i32 s16, s10, 0x8000
	v_lshl_add_u32 v4, v3, 10, v0
	v_lshl_add_u32 v5, v3, 9, v52
	s_mov_b64 s[10:11], 0
	v_mov_b32_e32 v1, 0
                                        ; implicit-def: $sgpr12_sgpr13
	s_branch .LBB26_3
.LBB26_2:                               ;   in Loop: Header=BB26_3 Depth=1
	s_or_b64 exec, exec, s[14:15]
	s_and_b64 s[14:15], exec, s[12:13]
	s_or_b64 s[10:11], s[14:15], s[10:11]
	s_andn2_b64 exec, exec, s[10:11]
	s_cbranch_execz .LBB26_5
.LBB26_3:                               ; =>This Inner Loop Header: Depth=1
	v_add_u32_e32 v0, s7, v5
	v_cmp_gt_u32_e32 vcc, s16, v0
	s_or_b64 s[12:13], s[12:13], exec
	s_and_saveexec_b64 s[14:15], vcc
	s_cbranch_execz .LBB26_2
; %bb.4:                                ;   in Loop: Header=BB26_3 Depth=1
	v_lshlrev_b64 v[6:7], 1, v[0:1]
	s_waitcnt lgkmcnt(0)
	v_mov_b32_e32 v0, s1
	v_add_co_u32_e32 v6, vcc, s0, v6
	v_addc_co_u32_e32 v7, vcc, v0, v7, vcc
	global_load_dwordx4 v[6:9], v[6:7], off
	s_addk_i32 s7, 0x2000
	s_cmp_ge_u32 s7, s16
	s_cselect_b64 s[18:19], -1, 0
	s_andn2_b64 s[12:13], s[12:13], exec
	s_and_b64 s[18:19], s[18:19], exec
	s_or_b64 s[12:13], s[12:13], s[18:19]
	s_waitcnt vmcnt(0)
	ds_write_b128 v4, v[6:9]
	v_add_u32_e32 v4, 0x4000, v4
	s_branch .LBB26_2
.LBB26_5:
	s_or_b64 exec, exec, s[10:11]
.LBB26_6:
	s_waitcnt lgkmcnt(0)
	s_load_dwordx2 s[0:1], s[4:5], 0x20
	s_waitcnt lgkmcnt(0)
	s_barrier
	v_cmp_gt_u32_e32 vcc, s0, v3
	s_and_saveexec_b64 s[10:11], vcc
	s_cbranch_execz .LBB26_65
; %bb.7:
	s_mul_i32 s6, s6, s0
	v_add_u32_e32 v0, s6, v3
	v_lshlrev_b32_e32 v20, 2, v0
	v_cmp_gt_u32_e32 vcc, s9, v20
	s_and_b64 exec, exec, vcc
	s_cbranch_execz .LBB26_65
; %bb.8:
	s_load_dwordx2 s[6:7], s[4:5], 0x8
	s_load_dwordx2 s[10:11], s[4:5], 0x18
	s_mul_i32 s12, s0, s1
	v_mul_lo_u32 v0, s8, v0
	s_lshl_b32 s18, s12, 2
	s_ashr_i32 s5, s8, 31
	s_mov_b32 s4, s8
	v_lshl_add_u32 v54, v0, 2, v52
	s_mul_i32 s12, s12, s8
	v_cndmask_b32_e64 v0, 0, 1, s[2:3]
	v_cmp_eq_u32_e64 s[0:1], 63, v2
	s_lshl_b64 s[4:5], s[4:5], 1
	s_lshl_b32 s19, s8, 2
	v_lshlrev_b32_e32 v53, 4, v2
	s_lshl_b32 s20, s8, 1
	s_lshl_b32 s21, s12, 2
	s_mov_b64 s[12:13], 0
	v_cmp_ne_u32_e64 s[2:3], 1, v0
	v_mov_b32_e32 v23, 0
	s_mov_b32 s22, 0x7f800000
	s_movk_i32 s23, 0x7fff
	s_branch .LBB26_11
.LBB26_9:                               ;   in Loop: Header=BB26_11 Depth=1
	s_or_b64 exec, exec, s[16:17]
	v_add_u32_e32 v22, 3, v22
	v_lshlrev_b64 v[2:3], 1, v[22:23]
	v_mov_b32_e32 v1, s11
	v_add_co_u32_e32 v2, vcc, s10, v2
	v_addc_co_u32_e32 v3, vcc, v1, v3, vcc
	global_store_short_d16_hi v[2:3], v0, off
.LBB26_10:                              ;   in Loop: Header=BB26_11 Depth=1
	s_or_b64 exec, exec, s[14:15]
	v_add_u32_e32 v20, s18, v20
	v_cmp_le_u32_e32 vcc, s9, v20
	s_or_b64 s[12:13], vcc, s[12:13]
	v_add_u32_e32 v54, s21, v54
	s_andn2_b64 exec, exec, s[12:13]
	s_cbranch_execz .LBB26_65
.LBB26_11:                              ; =>This Loop Header: Depth=1
                                        ;     Child Loop BB26_14 Depth 2
	s_and_b64 vcc, exec, s[2:3]
	v_mov_b32_e32 v25, v23
	v_mov_b32_e32 v24, v23
	;; [unrolled: 1-line block ×12, first 2 shown]
	s_cbranch_vccnz .LBB26_16
; %bb.12:                               ;   in Loop: Header=BB26_11 Depth=1
	v_mov_b32_e32 v34, 0
	s_mov_b32 s16, 0
	v_mov_b32_e32 v21, v53
	v_mov_b32_e32 v35, v34
	;; [unrolled: 1-line block ×12, first 2 shown]
	s_branch .LBB26_14
.LBB26_13:                              ;   in Loop: Header=BB26_14 Depth=2
	s_or_b64 exec, exec, s[14:15]
	s_addk_i32 s16, 0x200
	s_cmp_ge_u32 s16, s8
	v_add_u32_e32 v21, 0x400, v21
	s_cbranch_scc1 .LBB26_16
.LBB26_14:                              ;   Parent Loop BB26_11 Depth=1
                                        ; =>  This Inner Loop Header: Depth=2
	v_add_u32_e32 v0, s16, v52
	v_cmp_gt_u32_e32 vcc, s8, v0
	s_and_saveexec_b64 s[14:15], vcc
	s_cbranch_execz .LBB26_13
; %bb.15:                               ;   in Loop: Header=BB26_14 Depth=2
	v_add_u32_e32 v22, s16, v54
	v_lshlrev_b64 v[0:1], 1, v[22:23]
	s_waitcnt lgkmcnt(0)
	v_mov_b32_e32 v2, s7
	v_add_co_u32_e32 v0, vcc, s6, v0
	v_addc_co_u32_e32 v1, vcc, v2, v1, vcc
	global_load_dwordx4 v[12:15], v[0:1], off glc slc
	v_mov_b32_e32 v2, s5
	v_add_co_u32_e32 v0, vcc, s4, v0
	v_addc_co_u32_e32 v1, vcc, v1, v2, vcc
	global_load_dwordx4 v[8:11], v[0:1], off glc slc
	v_add_co_u32_e32 v0, vcc, s4, v0
	v_addc_co_u32_e32 v1, vcc, v1, v2, vcc
	global_load_dwordx4 v[4:7], v[0:1], off glc slc
	;; [unrolled: 3-line block ×3, first 2 shown]
	ds_read_b128 v[16:19], v21
	v_add_u32_e32 v22, s19, v21
	ds_read2_b32 v[36:37], v22 offset0:2 offset1:3
	v_add_u32_e32 v55, s20, v21
	s_waitcnt lgkmcnt(1)
	v_and_b32_e32 v49, 0xffff0000, v16
	v_lshlrev_b32_e32 v48, 16, v16
	v_and_b32_e32 v51, 0xffff0000, v17
	v_lshlrev_b32_e32 v50, 16, v17
	;; [unrolled: 2-line block ×4, first 2 shown]
	s_waitcnt vmcnt(3)
	v_and_b32_e32 v45, 0xffff0000, v12
	v_lshlrev_b32_e32 v44, 16, v12
	v_and_b32_e32 v19, 0xffff0000, v14
	v_lshlrev_b32_e32 v18, 16, v14
	;; [unrolled: 2-line block ×3, first 2 shown]
	s_waitcnt vmcnt(2)
	v_and_b32_e32 v15, 0xffff0000, v8
	v_lshlrev_b32_e32 v14, 16, v8
	v_and_b32_e32 v41, 0xffff0000, v13
	v_lshlrev_b32_e32 v40, 16, v13
	v_pk_mul_f32 v[60:61], v[48:49], v[44:45]
	v_and_b32_e32 v39, 0xffff0000, v9
	v_lshlrev_b32_e32 v38, 16, v9
	v_pk_mul_f32 v[68:69], v[48:49], v[14:15]
	v_pk_mul_f32 v[62:63], v[50:51], v[40:41]
	v_and_b32_e32 v43, 0xffff0000, v10
	v_lshlrev_b32_e32 v42, 16, v10
	v_pk_mul_f32 v[70:71], v[50:51], v[38:39]
	v_mov_b32_e32 v76, v60
	v_mov_b32_e32 v77, v68
	;; [unrolled: 1-line block ×3, first 2 shown]
	v_pk_mul_f32 v[64:65], v[56:57], v[18:19]
	v_and_b32_e32 v47, 0xffff0000, v11
	v_lshlrev_b32_e32 v46, 16, v11
	v_pk_mul_f32 v[72:73], v[56:57], v[42:43]
	v_mov_b32_e32 v60, v62
	s_waitcnt vmcnt(1)
	v_and_b32_e32 v9, 0xffff0000, v4
	v_lshlrev_b32_e32 v8, 16, v4
	v_and_b32_e32 v11, 0xffff0000, v5
	v_lshlrev_b32_e32 v10, 16, v5
	;; [unrolled: 2-line block ×4, first 2 shown]
	v_mov_b32_e32 v61, v70
	v_mov_b32_e32 v70, v63
	v_pk_add_f32 v[6:7], v[76:77], v[68:69]
	v_pk_mul_f32 v[66:67], v[58:59], v[16:17]
	v_pk_mul_f32 v[74:75], v[58:59], v[46:47]
	v_mov_b32_e32 v62, v64
	v_mov_b32_e32 v63, v72
	;; [unrolled: 1-line block ×3, first 2 shown]
	v_pk_add_f32 v[60:61], v[60:61], v[70:71]
	v_pk_add_f32 v[6:7], v[34:35], v[6:7]
	v_mov_b32_e32 v64, v66
	v_mov_b32_e32 v65, v74
	;; [unrolled: 1-line block ×3, first 2 shown]
	v_pk_add_f32 v[62:63], v[62:63], v[72:73]
	v_pk_add_f32 v[6:7], v[6:7], v[60:61]
	v_pk_add_f32 v[64:65], v[64:65], v[74:75]
	v_pk_add_f32 v[6:7], v[6:7], v[62:63]
	v_pk_add_f32 v[34:35], v[6:7], v[64:65]
	s_waitcnt vmcnt(0)
	v_and_b32_e32 v7, 0xffff0000, v0
	v_lshlrev_b32_e32 v6, 16, v0
	v_pk_mul_f32 v[66:67], v[48:49], v[8:9]
	v_pk_mul_f32 v[60:61], v[48:49], v[6:7]
	v_and_b32_e32 v49, 0xffff0000, v1
	v_lshlrev_b32_e32 v48, 16, v1
	v_pk_mul_f32 v[78:79], v[50:51], v[10:11]
	v_pk_mul_f32 v[62:63], v[50:51], v[48:49]
	v_and_b32_e32 v51, 0xffff0000, v3
	v_lshlrev_b32_e32 v50, 16, v3
	v_pk_mul_f32 v[82:83], v[58:59], v[12:13]
	v_and_b32_e32 v1, 0xffff0000, v2
	v_lshlrev_b32_e32 v0, 16, v2
	v_pk_mul_f32 v[2:3], v[58:59], v[50:51]
	v_mov_b32_e32 v58, v66
	v_mov_b32_e32 v59, v60
	v_mov_b32_e32 v60, v67
	v_pk_add_f32 v[58:59], v[58:59], v[60:61]
	v_pk_add_f32 v[32:33], v[32:33], v[58:59]
	v_mov_b32_e32 v58, v78
	v_mov_b32_e32 v59, v62
	;; [unrolled: 1-line block ×3, first 2 shown]
	v_pk_mul_f32 v[80:81], v[56:57], v[4:5]
	v_pk_mul_f32 v[56:57], v[56:57], v[0:1]
	v_pk_add_f32 v[58:59], v[58:59], v[62:63]
	v_pk_add_f32 v[32:33], v[32:33], v[58:59]
	v_mov_b32_e32 v58, v80
	v_mov_b32_e32 v59, v56
	;; [unrolled: 1-line block ×3, first 2 shown]
	v_pk_add_f32 v[56:57], v[58:59], v[56:57]
	v_pk_add_f32 v[32:33], v[32:33], v[56:57]
	ds_read_b128 v[56:59], v55
	v_mov_b32_e32 v60, v82
	v_mov_b32_e32 v61, v2
	;; [unrolled: 1-line block ×3, first 2 shown]
	v_pk_add_f32 v[2:3], v[60:61], v[2:3]
	v_pk_add_f32 v[32:33], v[32:33], v[2:3]
	ds_read2_b32 v[2:3], v22 offset1:1
	s_waitcnt lgkmcnt(1)
	v_and_b32_e32 v61, 0xffff0000, v56
	v_lshlrev_b32_e32 v60, 16, v56
	v_pk_mul_f32 v[62:63], v[60:61], v[44:45]
	v_pk_mul_f32 v[72:73], v[60:61], v[14:15]
	v_and_b32_e32 v65, 0xffff0000, v57
	v_lshlrev_b32_e32 v64, 16, v57
	v_mov_b32_e32 v80, v62
	v_mov_b32_e32 v81, v72
	;; [unrolled: 1-line block ×3, first 2 shown]
	v_pk_mul_f32 v[56:57], v[64:65], v[40:41]
	v_pk_mul_f32 v[74:75], v[64:65], v[38:39]
	v_pk_add_f32 v[62:63], v[80:81], v[72:73]
	v_and_b32_e32 v67, 0xffff0000, v58
	v_lshlrev_b32_e32 v66, 16, v58
	v_pk_add_f32 v[30:31], v[30:31], v[62:63]
	v_mov_b32_e32 v62, v56
	v_mov_b32_e32 v63, v74
	;; [unrolled: 1-line block ×3, first 2 shown]
	v_pk_mul_f32 v[68:69], v[66:67], v[18:19]
	v_pk_mul_f32 v[76:77], v[66:67], v[42:43]
	v_pk_add_f32 v[56:57], v[62:63], v[74:75]
	v_and_b32_e32 v71, 0xffff0000, v59
	v_lshlrev_b32_e32 v70, 16, v59
	v_pk_add_f32 v[30:31], v[30:31], v[56:57]
	v_mov_b32_e32 v56, v68
	v_mov_b32_e32 v57, v76
	;; [unrolled: 1-line block ×3, first 2 shown]
	v_pk_mul_f32 v[58:59], v[70:71], v[16:17]
	v_pk_mul_f32 v[78:79], v[70:71], v[46:47]
	v_pk_add_f32 v[56:57], v[56:57], v[76:77]
	v_pk_add_f32 v[30:31], v[30:31], v[56:57]
	v_mov_b32_e32 v56, v58
	v_mov_b32_e32 v57, v78
	;; [unrolled: 1-line block ×3, first 2 shown]
	v_pk_add_f32 v[56:57], v[56:57], v[78:79]
	v_pk_add_f32 v[30:31], v[30:31], v[56:57]
	v_pk_mul_f32 v[56:57], v[60:61], v[8:9]
	v_pk_mul_f32 v[60:61], v[60:61], v[6:7]
	v_mov_b32_e32 v72, v56
	v_mov_b32_e32 v73, v60
	v_mov_b32_e32 v60, v57
	v_pk_mul_f32 v[58:59], v[64:65], v[10:11]
	v_pk_mul_f32 v[64:65], v[64:65], v[48:49]
	v_pk_add_f32 v[56:57], v[72:73], v[60:61]
	v_pk_add_f32 v[28:29], v[28:29], v[56:57]
	v_mov_b32_e32 v56, v58
	v_mov_b32_e32 v57, v64
	v_mov_b32_e32 v64, v59
	v_pk_mul_f32 v[62:63], v[66:67], v[4:5]
	v_pk_mul_f32 v[66:67], v[66:67], v[0:1]
	v_pk_add_f32 v[56:57], v[56:57], v[64:65]
	v_pk_add_f32 v[28:29], v[28:29], v[56:57]
	;; [unrolled: 7-line block ×3, first 2 shown]
	v_mov_b32_e32 v56, v68
	v_mov_b32_e32 v57, v70
	;; [unrolled: 1-line block ×3, first 2 shown]
	v_pk_add_f32 v[56:57], v[56:57], v[70:71]
	v_pk_add_f32 v[28:29], v[28:29], v[56:57]
	s_waitcnt lgkmcnt(0)
	v_and_b32_e32 v57, 0xffff0000, v2
	v_lshlrev_b32_e32 v56, 16, v2
	v_and_b32_e32 v59, 0xffff0000, v3
	v_lshlrev_b32_e32 v58, 16, v3
	v_pk_mul_f32 v[44:45], v[56:57], v[44:45]
	v_pk_mul_f32 v[2:3], v[58:59], v[40:41]
	v_and_b32_e32 v41, 0xffff0000, v36
	v_lshlrev_b32_e32 v40, 16, v36
	v_and_b32_e32 v61, 0xffff0000, v37
	v_lshlrev_b32_e32 v60, 16, v37
	v_pk_mul_f32 v[14:15], v[56:57], v[14:15]
	v_pk_mul_f32 v[36:37], v[58:59], v[38:39]
	v_pk_mul_f32 v[38:39], v[40:41], v[42:43]
	v_pk_mul_f32 v[42:43], v[60:61], v[46:47]
	v_mov_b32_e32 v46, v44
	v_mov_b32_e32 v47, v14
	;; [unrolled: 1-line block ×3, first 2 shown]
	v_pk_add_f32 v[14:15], v[46:47], v[14:15]
	v_pk_add_f32 v[14:15], v[26:27], v[14:15]
	v_mov_b32_e32 v26, v2
	v_mov_b32_e32 v27, v36
	;; [unrolled: 1-line block ×3, first 2 shown]
	v_pk_mul_f32 v[18:19], v[40:41], v[18:19]
	v_pk_add_f32 v[2:3], v[26:27], v[36:37]
	v_pk_add_f32 v[2:3], v[14:15], v[2:3]
	v_mov_b32_e32 v14, v18
	v_mov_b32_e32 v15, v38
	;; [unrolled: 1-line block ×3, first 2 shown]
	v_pk_mul_f32 v[16:17], v[60:61], v[16:17]
	v_pk_add_f32 v[14:15], v[14:15], v[38:39]
	v_pk_add_f32 v[2:3], v[2:3], v[14:15]
	v_mov_b32_e32 v14, v16
	v_mov_b32_e32 v15, v42
	;; [unrolled: 1-line block ×3, first 2 shown]
	v_pk_add_f32 v[14:15], v[14:15], v[42:43]
	v_pk_add_f32 v[26:27], v[2:3], v[14:15]
	v_pk_mul_f32 v[2:3], v[56:57], v[8:9]
	v_pk_mul_f32 v[6:7], v[56:57], v[6:7]
	;; [unrolled: 1-line block ×5, first 2 shown]
	v_mov_b32_e32 v16, v2
	v_mov_b32_e32 v17, v6
	;; [unrolled: 1-line block ×3, first 2 shown]
	v_pk_add_f32 v[2:3], v[16:17], v[6:7]
	v_mov_b32_e32 v6, v8
	v_mov_b32_e32 v7, v12
	;; [unrolled: 1-line block ×3, first 2 shown]
	v_pk_mul_f32 v[4:5], v[40:41], v[4:5]
	v_pk_mul_f32 v[0:1], v[40:41], v[0:1]
	v_pk_add_f32 v[2:3], v[24:25], v[2:3]
	v_pk_add_f32 v[6:7], v[6:7], v[12:13]
	v_pk_add_f32 v[2:3], v[2:3], v[6:7]
	v_mov_b32_e32 v6, v4
	v_mov_b32_e32 v7, v0
	;; [unrolled: 1-line block ×3, first 2 shown]
	v_pk_mul_f32 v[14:15], v[60:61], v[50:51]
	v_pk_add_f32 v[0:1], v[6:7], v[0:1]
	v_pk_add_f32 v[0:1], v[2:3], v[0:1]
	v_mov_b32_e32 v2, v10
	v_mov_b32_e32 v3, v14
	;; [unrolled: 1-line block ×3, first 2 shown]
	v_pk_add_f32 v[2:3], v[2:3], v[14:15]
	v_pk_add_f32 v[24:25], v[0:1], v[2:3]
	s_branch .LBB26_13
.LBB26_16:                              ;   in Loop: Header=BB26_11 Depth=1
	;;#ASMSTART
	s_nop 0
	v_add_f32 v34, v34, v34 row_shr:8 bound_ctrl:0 
	;;#ASMEND
	;;#ASMSTART
	s_nop 0
	v_add_f32 v35, v35, v35 row_shr:8 bound_ctrl:0 
	;;#ASMEND
	;; [unrolled: 4-line block ×36, first 2 shown]
	;;#ASMSTART
	s_nop 0
	v_add_f32 v34, v34, v34 wave_shr:1 bound_ctrl:0
	;;#ASMEND
	;;#ASMSTART
	s_nop 0
	v_add_f32 v35, v35, v35 wave_shr:1 bound_ctrl:0
	;;#ASMEND
	;; [unrolled: 4-line block ×12, first 2 shown]
	;;#ASMSTART
	s_nop 0
	v_add_f32 v34, v34, v34 row_bcast:15 bound_ctrl:0
	;;#ASMEND
	;;#ASMSTART
	s_nop 0
	v_add_f32 v35, v35, v35 row_bcast:15 bound_ctrl:0
	;;#ASMEND
	;; [unrolled: 4-line block ×24, first 2 shown]
	s_and_saveexec_b64 s[14:15], s[0:1]
	s_cbranch_execz .LBB26_10
; %bb.17:                               ;   in Loop: Header=BB26_11 Depth=1
	v_and_b32_e32 v0, 0x7f800000, v34
	v_cmp_ne_u32_e32 vcc, s22, v0
                                        ; implicit-def: $vgpr2
	s_and_saveexec_b64 s[16:17], vcc
	s_xor_b64 s[16:17], exec, s[16:17]
; %bb.18:                               ;   in Loop: Header=BB26_11 Depth=1
	v_bfe_u32 v0, v34, 16, 1
	v_add3_u32 v2, v34, v0, s23
; %bb.19:                               ;   in Loop: Header=BB26_11 Depth=1
	s_andn2_saveexec_b64 s[16:17], s[16:17]
; %bb.20:                               ;   in Loop: Header=BB26_11 Depth=1
	v_or_b32_e32 v0, 0x10000, v34
	v_cmp_eq_u32_sdwa vcc, v34, v23 src0_sel:WORD_0 src1_sel:DWORD
	v_cndmask_b32_e32 v2, v0, v34, vcc
; %bb.21:                               ;   in Loop: Header=BB26_11 Depth=1
	s_or_b64 exec, exec, s[16:17]
	v_mov_b32_e32 v21, v23
	v_lshlrev_b64 v[0:1], 1, v[20:21]
	s_waitcnt lgkmcnt(0)
	v_mov_b32_e32 v3, s11
	v_add_co_u32_e32 v0, vcc, s10, v0
	v_addc_co_u32_e32 v1, vcc, v3, v1, vcc
	global_store_short_d16_hi v[0:1], v2, off
	v_and_b32_e32 v2, 0x7f800000, v35
	v_cmp_ne_u32_e32 vcc, s22, v2
                                        ; implicit-def: $vgpr2
	s_and_saveexec_b64 s[16:17], vcc
	s_xor_b64 s[16:17], exec, s[16:17]
; %bb.22:                               ;   in Loop: Header=BB26_11 Depth=1
	v_bfe_u32 v2, v35, 16, 1
	v_add3_u32 v2, v35, v2, s23
                                        ; implicit-def: $vgpr35
; %bb.23:                               ;   in Loop: Header=BB26_11 Depth=1
	s_andn2_saveexec_b64 s[16:17], s[16:17]
; %bb.24:                               ;   in Loop: Header=BB26_11 Depth=1
	v_or_b32_e32 v2, 0x10000, v35
	v_cmp_eq_u32_sdwa vcc, v35, v23 src0_sel:WORD_0 src1_sel:DWORD
	v_cndmask_b32_e32 v2, v2, v35, vcc
; %bb.25:                               ;   in Loop: Header=BB26_11 Depth=1
	s_or_b64 exec, exec, s[16:17]
	global_store_short_d16_hi v[0:1], v2, off offset:2
	v_and_b32_e32 v2, 0x7f800000, v32
	v_cmp_ne_u32_e32 vcc, s22, v2
                                        ; implicit-def: $vgpr2
	s_and_saveexec_b64 s[16:17], vcc
	s_xor_b64 s[16:17], exec, s[16:17]
; %bb.26:                               ;   in Loop: Header=BB26_11 Depth=1
	v_bfe_u32 v2, v32, 16, 1
	v_add3_u32 v2, v32, v2, s23
; %bb.27:                               ;   in Loop: Header=BB26_11 Depth=1
	s_andn2_saveexec_b64 s[16:17], s[16:17]
; %bb.28:                               ;   in Loop: Header=BB26_11 Depth=1
	v_or_b32_e32 v2, 0x10000, v32
	v_cmp_eq_u32_sdwa vcc, v32, v23 src0_sel:WORD_0 src1_sel:DWORD
	v_cndmask_b32_e32 v2, v2, v32, vcc
; %bb.29:                               ;   in Loop: Header=BB26_11 Depth=1
	s_or_b64 exec, exec, s[16:17]
	global_store_short_d16_hi v[0:1], v2, off offset:4
	v_and_b32_e32 v2, 0x7f800000, v33
	v_cmp_ne_u32_e32 vcc, s22, v2
                                        ; implicit-def: $vgpr2
	s_and_saveexec_b64 s[16:17], vcc
	s_xor_b64 s[16:17], exec, s[16:17]
; %bb.30:                               ;   in Loop: Header=BB26_11 Depth=1
	v_bfe_u32 v2, v33, 16, 1
	v_add3_u32 v2, v33, v2, s23
                                        ; implicit-def: $vgpr33
; %bb.31:                               ;   in Loop: Header=BB26_11 Depth=1
	s_andn2_saveexec_b64 s[16:17], s[16:17]
; %bb.32:                               ;   in Loop: Header=BB26_11 Depth=1
	v_or_b32_e32 v2, 0x10000, v33
	v_cmp_eq_u32_sdwa vcc, v33, v23 src0_sel:WORD_0 src1_sel:DWORD
	v_cndmask_b32_e32 v2, v2, v33, vcc
; %bb.33:                               ;   in Loop: Header=BB26_11 Depth=1
	s_or_b64 exec, exec, s[16:17]
	global_store_short_d16_hi v[0:1], v2, off offset:6
	v_and_b32_e32 v0, 0x7f800000, v30
	v_cmp_ne_u32_e32 vcc, s22, v0
                                        ; implicit-def: $vgpr0
	s_and_saveexec_b64 s[16:17], vcc
	s_xor_b64 s[16:17], exec, s[16:17]
; %bb.34:                               ;   in Loop: Header=BB26_11 Depth=1
	v_bfe_u32 v0, v30, 16, 1
	v_add3_u32 v0, v30, v0, s23
; %bb.35:                               ;   in Loop: Header=BB26_11 Depth=1
	s_andn2_saveexec_b64 s[16:17], s[16:17]
; %bb.36:                               ;   in Loop: Header=BB26_11 Depth=1
	v_or_b32_e32 v0, 0x10000, v30
	v_cmp_eq_u32_sdwa vcc, v30, v23 src0_sel:WORD_0 src1_sel:DWORD
	v_cndmask_b32_e32 v0, v0, v30, vcc
; %bb.37:                               ;   in Loop: Header=BB26_11 Depth=1
	s_or_b64 exec, exec, s[16:17]
	v_add_u32_e32 v22, s9, v20
	v_lshlrev_b64 v[2:3], 1, v[22:23]
	v_mov_b32_e32 v1, s11
	v_add_co_u32_e32 v2, vcc, s10, v2
	v_addc_co_u32_e32 v3, vcc, v1, v3, vcc
	global_store_short_d16_hi v[2:3], v0, off
	v_and_b32_e32 v0, 0x7f800000, v31
	v_cmp_ne_u32_e32 vcc, s22, v0
                                        ; implicit-def: $vgpr0
	s_and_saveexec_b64 s[16:17], vcc
	s_xor_b64 s[16:17], exec, s[16:17]
; %bb.38:                               ;   in Loop: Header=BB26_11 Depth=1
	v_bfe_u32 v0, v31, 16, 1
	v_add3_u32 v0, v31, v0, s23
                                        ; implicit-def: $vgpr31
; %bb.39:                               ;   in Loop: Header=BB26_11 Depth=1
	s_andn2_saveexec_b64 s[16:17], s[16:17]
; %bb.40:                               ;   in Loop: Header=BB26_11 Depth=1
	v_or_b32_e32 v0, 0x10000, v31
	v_cmp_eq_u32_sdwa vcc, v31, v23 src0_sel:WORD_0 src1_sel:DWORD
	v_cndmask_b32_e32 v0, v0, v31, vcc
; %bb.41:                               ;   in Loop: Header=BB26_11 Depth=1
	s_or_b64 exec, exec, s[16:17]
	v_add_u32_e32 v2, 1, v22
	v_mov_b32_e32 v3, v23
	v_lshlrev_b64 v[2:3], 1, v[2:3]
	v_mov_b32_e32 v1, s11
	v_add_co_u32_e32 v2, vcc, s10, v2
	v_addc_co_u32_e32 v3, vcc, v1, v3, vcc
	global_store_short_d16_hi v[2:3], v0, off
	v_and_b32_e32 v0, 0x7f800000, v28
	v_cmp_ne_u32_e32 vcc, s22, v0
                                        ; implicit-def: $vgpr0
	s_and_saveexec_b64 s[16:17], vcc
	s_xor_b64 s[16:17], exec, s[16:17]
; %bb.42:                               ;   in Loop: Header=BB26_11 Depth=1
	v_bfe_u32 v0, v28, 16, 1
	v_add3_u32 v0, v28, v0, s23
; %bb.43:                               ;   in Loop: Header=BB26_11 Depth=1
	s_andn2_saveexec_b64 s[16:17], s[16:17]
; %bb.44:                               ;   in Loop: Header=BB26_11 Depth=1
	v_or_b32_e32 v0, 0x10000, v28
	v_cmp_eq_u32_sdwa vcc, v28, v23 src0_sel:WORD_0 src1_sel:DWORD
	v_cndmask_b32_e32 v0, v0, v28, vcc
; %bb.45:                               ;   in Loop: Header=BB26_11 Depth=1
	s_or_b64 exec, exec, s[16:17]
	v_add_u32_e32 v2, 2, v22
	v_mov_b32_e32 v3, v23
	v_lshlrev_b64 v[2:3], 1, v[2:3]
	v_mov_b32_e32 v1, s11
	v_add_co_u32_e32 v2, vcc, s10, v2
	v_addc_co_u32_e32 v3, vcc, v1, v3, vcc
	global_store_short_d16_hi v[2:3], v0, off
	v_and_b32_e32 v0, 0x7f800000, v29
	v_cmp_ne_u32_e32 vcc, s22, v0
                                        ; implicit-def: $vgpr0
	s_and_saveexec_b64 s[16:17], vcc
	s_xor_b64 s[16:17], exec, s[16:17]
; %bb.46:                               ;   in Loop: Header=BB26_11 Depth=1
	v_bfe_u32 v0, v29, 16, 1
	v_add3_u32 v0, v29, v0, s23
                                        ; implicit-def: $vgpr29
; %bb.47:                               ;   in Loop: Header=BB26_11 Depth=1
	s_andn2_saveexec_b64 s[16:17], s[16:17]
; %bb.48:                               ;   in Loop: Header=BB26_11 Depth=1
	v_or_b32_e32 v0, 0x10000, v29
	v_cmp_eq_u32_sdwa vcc, v29, v23 src0_sel:WORD_0 src1_sel:DWORD
	v_cndmask_b32_e32 v0, v0, v29, vcc
; %bb.49:                               ;   in Loop: Header=BB26_11 Depth=1
	s_or_b64 exec, exec, s[16:17]
	v_add_u32_e32 v2, 3, v22
	v_mov_b32_e32 v3, v23
	v_lshlrev_b64 v[2:3], 1, v[2:3]
	v_mov_b32_e32 v1, s11
	v_add_co_u32_e32 v2, vcc, s10, v2
	v_addc_co_u32_e32 v3, vcc, v1, v3, vcc
	global_store_short_d16_hi v[2:3], v0, off
	v_and_b32_e32 v0, 0x7f800000, v26
	v_cmp_ne_u32_e32 vcc, s22, v0
                                        ; implicit-def: $vgpr2
	s_and_saveexec_b64 s[16:17], vcc
	s_xor_b64 s[16:17], exec, s[16:17]
; %bb.50:                               ;   in Loop: Header=BB26_11 Depth=1
	v_bfe_u32 v0, v26, 16, 1
	v_add3_u32 v2, v26, v0, s23
; %bb.51:                               ;   in Loop: Header=BB26_11 Depth=1
	s_andn2_saveexec_b64 s[16:17], s[16:17]
; %bb.52:                               ;   in Loop: Header=BB26_11 Depth=1
	v_or_b32_e32 v0, 0x10000, v26
	v_cmp_eq_u32_sdwa vcc, v26, v23 src0_sel:WORD_0 src1_sel:DWORD
	v_cndmask_b32_e32 v2, v0, v26, vcc
; %bb.53:                               ;   in Loop: Header=BB26_11 Depth=1
	s_or_b64 exec, exec, s[16:17]
	v_add_u32_e32 v22, s9, v22
	v_lshlrev_b64 v[0:1], 1, v[22:23]
	v_mov_b32_e32 v3, s11
	v_add_co_u32_e32 v0, vcc, s10, v0
	v_addc_co_u32_e32 v1, vcc, v3, v1, vcc
	global_store_short_d16_hi v[0:1], v2, off
	v_and_b32_e32 v2, 0x7f800000, v27
	v_cmp_ne_u32_e32 vcc, s22, v2
                                        ; implicit-def: $vgpr2
	s_and_saveexec_b64 s[16:17], vcc
	s_xor_b64 s[16:17], exec, s[16:17]
; %bb.54:                               ;   in Loop: Header=BB26_11 Depth=1
	v_bfe_u32 v2, v27, 16, 1
	v_add3_u32 v2, v27, v2, s23
                                        ; implicit-def: $vgpr27
; %bb.55:                               ;   in Loop: Header=BB26_11 Depth=1
	s_andn2_saveexec_b64 s[16:17], s[16:17]
; %bb.56:                               ;   in Loop: Header=BB26_11 Depth=1
	v_or_b32_e32 v2, 0x10000, v27
	v_cmp_eq_u32_sdwa vcc, v27, v23 src0_sel:WORD_0 src1_sel:DWORD
	v_cndmask_b32_e32 v2, v2, v27, vcc
; %bb.57:                               ;   in Loop: Header=BB26_11 Depth=1
	s_or_b64 exec, exec, s[16:17]
	global_store_short_d16_hi v[0:1], v2, off offset:2
	v_and_b32_e32 v0, 0x7f800000, v24
	v_cmp_ne_u32_e32 vcc, s22, v0
                                        ; implicit-def: $vgpr0
	s_and_saveexec_b64 s[16:17], vcc
	s_xor_b64 s[16:17], exec, s[16:17]
; %bb.58:                               ;   in Loop: Header=BB26_11 Depth=1
	v_bfe_u32 v0, v24, 16, 1
	v_add3_u32 v0, v24, v0, s23
; %bb.59:                               ;   in Loop: Header=BB26_11 Depth=1
	s_andn2_saveexec_b64 s[16:17], s[16:17]
; %bb.60:                               ;   in Loop: Header=BB26_11 Depth=1
	v_or_b32_e32 v0, 0x10000, v24
	v_cmp_eq_u32_sdwa vcc, v24, v23 src0_sel:WORD_0 src1_sel:DWORD
	v_cndmask_b32_e32 v0, v0, v24, vcc
; %bb.61:                               ;   in Loop: Header=BB26_11 Depth=1
	s_or_b64 exec, exec, s[16:17]
	v_add_u32_e32 v2, 2, v22
	v_mov_b32_e32 v3, v23
	v_lshlrev_b64 v[2:3], 1, v[2:3]
	v_mov_b32_e32 v1, s11
	v_add_co_u32_e32 v2, vcc, s10, v2
	v_addc_co_u32_e32 v3, vcc, v1, v3, vcc
	global_store_short_d16_hi v[2:3], v0, off
	v_and_b32_e32 v0, 0x7f800000, v25
	v_cmp_ne_u32_e32 vcc, s22, v0
                                        ; implicit-def: $vgpr0
	s_and_saveexec_b64 s[16:17], vcc
	s_xor_b64 s[16:17], exec, s[16:17]
; %bb.62:                               ;   in Loop: Header=BB26_11 Depth=1
	v_bfe_u32 v0, v25, 16, 1
	v_add3_u32 v0, v25, v0, s23
                                        ; implicit-def: $vgpr25
; %bb.63:                               ;   in Loop: Header=BB26_11 Depth=1
	s_andn2_saveexec_b64 s[16:17], s[16:17]
	s_cbranch_execz .LBB26_9
; %bb.64:                               ;   in Loop: Header=BB26_11 Depth=1
	v_or_b32_e32 v0, 0x10000, v25
	v_cmp_eq_u32_sdwa vcc, v25, v23 src0_sel:WORD_0 src1_sel:DWORD
	v_cndmask_b32_e32 v0, v0, v25, vcc
	s_branch .LBB26_9
.LBB26_65:
	s_endpgm
	.section	.rodata,"a",@progbits
	.p2align	6, 0x0
	.amdhsa_kernel _Z16wvSplitK_hf_sml_I14__hip_bfloat16Li64ELi4ELi16ELi8ELi1ELi3EEviiPKT_S3_PS1_ii
		.amdhsa_group_segment_fixed_size 65536
		.amdhsa_private_segment_fixed_size 0
		.amdhsa_kernarg_size 40
		.amdhsa_user_sgpr_count 6
		.amdhsa_user_sgpr_private_segment_buffer 1
		.amdhsa_user_sgpr_dispatch_ptr 0
		.amdhsa_user_sgpr_queue_ptr 0
		.amdhsa_user_sgpr_kernarg_segment_ptr 1
		.amdhsa_user_sgpr_dispatch_id 0
		.amdhsa_user_sgpr_flat_scratch_init 0
		.amdhsa_user_sgpr_kernarg_preload_length 0
		.amdhsa_user_sgpr_kernarg_preload_offset 0
		.amdhsa_user_sgpr_private_segment_size 0
		.amdhsa_uses_dynamic_stack 0
		.amdhsa_system_sgpr_private_segment_wavefront_offset 0
		.amdhsa_system_sgpr_workgroup_id_x 1
		.amdhsa_system_sgpr_workgroup_id_y 0
		.amdhsa_system_sgpr_workgroup_id_z 0
		.amdhsa_system_sgpr_workgroup_info 0
		.amdhsa_system_vgpr_workitem_id 1
		.amdhsa_next_free_vgpr 84
		.amdhsa_next_free_sgpr 24
		.amdhsa_accum_offset 84
		.amdhsa_reserve_vcc 1
		.amdhsa_reserve_flat_scratch 0
		.amdhsa_float_round_mode_32 0
		.amdhsa_float_round_mode_16_64 0
		.amdhsa_float_denorm_mode_32 3
		.amdhsa_float_denorm_mode_16_64 3
		.amdhsa_dx10_clamp 1
		.amdhsa_ieee_mode 1
		.amdhsa_fp16_overflow 0
		.amdhsa_tg_split 0
		.amdhsa_exception_fp_ieee_invalid_op 0
		.amdhsa_exception_fp_denorm_src 0
		.amdhsa_exception_fp_ieee_div_zero 0
		.amdhsa_exception_fp_ieee_overflow 0
		.amdhsa_exception_fp_ieee_underflow 0
		.amdhsa_exception_fp_ieee_inexact 0
		.amdhsa_exception_int_div_zero 0
	.end_amdhsa_kernel
	.section	.text._Z16wvSplitK_hf_sml_I14__hip_bfloat16Li64ELi4ELi16ELi8ELi1ELi3EEviiPKT_S3_PS1_ii,"axG",@progbits,_Z16wvSplitK_hf_sml_I14__hip_bfloat16Li64ELi4ELi16ELi8ELi1ELi3EEviiPKT_S3_PS1_ii,comdat
.Lfunc_end26:
	.size	_Z16wvSplitK_hf_sml_I14__hip_bfloat16Li64ELi4ELi16ELi8ELi1ELi3EEviiPKT_S3_PS1_ii, .Lfunc_end26-_Z16wvSplitK_hf_sml_I14__hip_bfloat16Li64ELi4ELi16ELi8ELi1ELi3EEviiPKT_S3_PS1_ii
                                        ; -- End function
	.section	.AMDGPU.csdata,"",@progbits
; Kernel info:
; codeLenInByte = 4388
; NumSgprs: 28
; NumVgprs: 84
; NumAgprs: 0
; TotalNumVgprs: 84
; ScratchSize: 0
; MemoryBound: 0
; FloatMode: 240
; IeeeMode: 1
; LDSByteSize: 65536 bytes/workgroup (compile time only)
; SGPRBlocks: 3
; VGPRBlocks: 10
; NumSGPRsForWavesPerEU: 28
; NumVGPRsForWavesPerEU: 84
; AccumOffset: 84
; Occupancy: 4
; WaveLimiterHint : 0
; COMPUTE_PGM_RSRC2:SCRATCH_EN: 0
; COMPUTE_PGM_RSRC2:USER_SGPR: 6
; COMPUTE_PGM_RSRC2:TRAP_HANDLER: 0
; COMPUTE_PGM_RSRC2:TGID_X_EN: 1
; COMPUTE_PGM_RSRC2:TGID_Y_EN: 0
; COMPUTE_PGM_RSRC2:TGID_Z_EN: 0
; COMPUTE_PGM_RSRC2:TIDIG_COMP_CNT: 1
; COMPUTE_PGM_RSRC3_GFX90A:ACCUM_OFFSET: 20
; COMPUTE_PGM_RSRC3_GFX90A:TG_SPLIT: 0
	.section	.text._Z12wvSplitK_hf_I14__hip_bfloat16Li64ELi7ELi16ELi8ELi1ELi3EEviiPKT_S3_PS1_ii,"axG",@progbits,_Z12wvSplitK_hf_I14__hip_bfloat16Li64ELi7ELi16ELi8ELi1ELi3EEviiPKT_S3_PS1_ii,comdat
	.protected	_Z12wvSplitK_hf_I14__hip_bfloat16Li64ELi7ELi16ELi8ELi1ELi3EEviiPKT_S3_PS1_ii ; -- Begin function _Z12wvSplitK_hf_I14__hip_bfloat16Li64ELi7ELi16ELi8ELi1ELi3EEviiPKT_S3_PS1_ii
	.globl	_Z12wvSplitK_hf_I14__hip_bfloat16Li64ELi7ELi16ELi8ELi1ELi3EEviiPKT_S3_PS1_ii
	.p2align	8
	.type	_Z12wvSplitK_hf_I14__hip_bfloat16Li64ELi7ELi16ELi8ELi1ELi3EEviiPKT_S3_PS1_ii,@function
_Z12wvSplitK_hf_I14__hip_bfloat16Li64ELi7ELi16ELi8ELi1ELi3EEviiPKT_S3_PS1_ii: ; @_Z12wvSplitK_hf_I14__hip_bfloat16Li64ELi7ELi16ELi8ELi1ELi3EEviiPKT_S3_PS1_ii
; %bb.0:
	s_mov_b64 s[46:47], s[2:3]
	s_mov_b64 s[44:45], s[0:1]
	s_load_dwordx2 s[2:3], s[4:5], 0x20
	s_load_dwordx2 s[18:19], s[4:5], 0x0
	;; [unrolled: 1-line block ×3, first 2 shown]
	v_bfe_u32 v9, v0, 10, 10
	s_mov_b32 s8, 1
	s_waitcnt lgkmcnt(0)
	s_mul_i32 s6, s6, s2
	v_add_u32_e32 v1, s6, v9
	v_mul_lo_u32 v18, v1, 7
	v_add_u32_e32 v1, 7, v18
	s_add_u32 s44, s44, s7
	v_cmp_gt_u32_e32 vcc, s19, v18
	v_cmp_le_u32_e64 s[0:1], s19, v1
	s_mov_b32 s9, s8
	s_mov_b32 s10, s8
	;; [unrolled: 1-line block ×6, first 2 shown]
	v_mov_b32_e32 v2, s8
	s_addc_u32 s45, s45, 0
	s_and_b64 s[6:7], vcc, s[0:1]
	v_mov_b32_e32 v3, s9
	v_mov_b32_e32 v4, s10
	;; [unrolled: 1-line block ×6, first 2 shown]
	s_and_saveexec_b64 s[0:1], s[6:7]
	s_cbranch_execz .LBB27_6
; %bb.1:
	s_add_i32 s15, s19, -7
	v_mov_b32_e32 v2, s8
	v_cmp_ne_u32_e32 vcc, s15, v18
	v_mov_b32_e32 v3, s9
	v_mov_b32_e32 v4, s10
	v_mov_b32_e32 v5, s11
	v_mov_b32_e32 v6, s12
	v_mov_b32_e32 v7, s13
	v_mov_b32_e32 v8, s14
	s_and_saveexec_b64 s[6:7], vcc
	s_cbranch_execz .LBB27_5
; %bb.2:
	v_subrev_u32_e32 v1, s15, v18
	v_cmp_lt_u32_e32 vcc, 1, v1
	v_cndmask_b32_e32 v10, 1, v1, vcc
	s_mov_b64 s[16:17], 0
	s_mov_b64 s[22:23], 0
	s_mov_b32 s9, s8
	s_mov_b32 s10, s8
	;; [unrolled: 1-line block ×6, first 2 shown]
.LBB27_3:                               ; =>This Inner Loop Header: Depth=1
	s_cmp_lg_u32 s22, 6
	s_cselect_b32 s14, s14, 0
	s_cmp_lg_u32 s22, 5
	s_cselect_b32 s13, s13, 0
	;; [unrolled: 2-line block ×7, first 2 shown]
	s_add_u32 s22, s22, 1
	s_addc_u32 s23, s23, 0
	v_cmp_eq_u32_e32 vcc, s22, v10
	v_mov_b32_e32 v2, s8
	s_or_b64 s[16:17], vcc, s[16:17]
	v_mov_b32_e32 v3, s9
	v_mov_b32_e32 v4, s10
	;; [unrolled: 1-line block ×6, first 2 shown]
	s_andn2_b64 exec, exec, s[16:17]
	s_cbranch_execnz .LBB27_3
; %bb.4:
	s_or_b64 exec, exec, s[16:17]
	v_mov_b32_e32 v18, s15
.LBB27_5:
	s_or_b64 exec, exec, s[6:7]
.LBB27_6:
	s_or_b64 exec, exec, s[0:1]
	v_and_b32_e32 v10, 0x3ff, v0
	s_cmp_lg_u32 s18, 0
	v_lshlrev_b32_e32 v0, 3, v10
	s_cselect_b64 s[6:7], -1, 0
	s_cmp_eq_u32 s18, 0
	s_mov_b32 s12, 0
	buffer_store_dword v0, off, s[44:47], 0 offset:96 ; 4-byte Folded Spill
	s_cbranch_scc1 .LBB27_12
; %bb.7:
	v_lshlrev_b32_e32 v0, 4, v10
	s_mul_i32 s0, s18, 3
	v_lshl_add_u32 v11, v9, 10, v0
	v_lshlrev_b32_e32 v0, 3, v10
	s_min_i32 s13, s0, 0x8000
	v_lshl_add_u32 v12, v9, 9, v0
	s_mov_b64 s[0:1], 0
	v_mov_b32_e32 v1, 0
                                        ; implicit-def: $sgpr8_sgpr9
	s_branch .LBB27_9
.LBB27_8:                               ;   in Loop: Header=BB27_9 Depth=1
	s_or_b64 exec, exec, s[10:11]
	s_and_b64 s[10:11], exec, s[8:9]
	s_or_b64 s[0:1], s[10:11], s[0:1]
	s_andn2_b64 exec, exec, s[0:1]
	s_cbranch_execz .LBB27_11
.LBB27_9:                               ; =>This Inner Loop Header: Depth=1
	v_add_u32_e32 v0, s12, v12
	v_cmp_gt_u32_e32 vcc, s13, v0
	s_or_b64 s[8:9], s[8:9], exec
	s_and_saveexec_b64 s[10:11], vcc
	s_cbranch_execz .LBB27_8
; %bb.10:                               ;   in Loop: Header=BB27_9 Depth=1
	v_lshlrev_b64 v[14:15], 1, v[0:1]
	v_mov_b32_e32 v0, s21
	v_add_co_u32_e32 v14, vcc, s20, v14
	v_addc_co_u32_e32 v15, vcc, v0, v15, vcc
	global_load_dwordx4 v[14:17], v[14:15], off
	s_addk_i32 s12, 0x2000
	s_cmp_ge_u32 s12, s13
	s_cselect_b64 s[14:15], -1, 0
	s_andn2_b64 s[8:9], s[8:9], exec
	s_and_b64 s[14:15], s[14:15], exec
	s_or_b64 s[8:9], s[8:9], s[14:15]
	s_waitcnt vmcnt(0)
	ds_write_b128 v11, v[14:17]
	v_add_u32_e32 v11, 0x4000, v11
	s_branch .LBB27_8
.LBB27_11:
	s_or_b64 exec, exec, s[0:1]
.LBB27_12:
	v_cmp_gt_u32_e32 vcc, s2, v9
	v_cmp_gt_u32_e64 s[0:1], s19, v18
	v_mov_b32_e32 v0, v18
	s_and_b64 s[0:1], vcc, s[0:1]
	s_waitcnt lgkmcnt(0)
	s_barrier
	buffer_store_dword v0, off, s[44:47], 0 offset:104 ; 4-byte Folded Spill
	s_nop 0
	buffer_store_dword v1, off, s[44:47], 0 offset:108 ; 4-byte Folded Spill
	s_and_saveexec_b64 s[8:9], s[0:1]
	s_cbranch_execz .LBB27_173
; %bb.13:
	s_load_dwordx2 s[22:23], s[4:5], 0x8
	s_load_dwordx2 s[24:25], s[4:5], 0x18
	s_mul_i32 s33, s2, s3
	s_ashr_i32 s3, s18, 31
	s_mov_b32 s2, s18
	v_cndmask_b32_e64 v0, 0, 1, s[6:7]
	v_cmp_eq_u32_e64 s[0:1], 63, v10
	s_mul_i32 s33, s33, 7
	s_add_i32 s38, s19, -7
	s_lshl_b64 s[26:27], s[2:3], 1
	s_mov_b64 s[28:29], 0
	v_cmp_ne_u32_e64 s[2:3], 1, v0
	v_mov_b32_e32 v1, 0
	s_movk_i32 s39, 0x7fff
	s_mov_b32 s40, 0x7f800000
                                        ; implicit-def: $vgpr9
                                        ; implicit-def: $vgpr34_vgpr35_vgpr36_vgpr37
                                        ; implicit-def: $vgpr30_vgpr31_vgpr32_vgpr33
                                        ; implicit-def: $vgpr26_vgpr27_vgpr28_vgpr29
                                        ; implicit-def: $vgpr22_vgpr23_vgpr24_vgpr25
                                        ; implicit-def: $vgpr18_vgpr19_vgpr20_vgpr21
                                        ; implicit-def: $vgpr14_vgpr15_vgpr16_vgpr17
                                        ; implicit-def: $vgpr10_vgpr11_vgpr12_vgpr13
	buffer_store_dword v6, off, s[44:47], 0 ; 4-byte Folded Spill
	s_nop 0
	buffer_store_dword v7, off, s[44:47], 0 offset:4 ; 4-byte Folded Spill
	buffer_store_dword v8, off, s[44:47], 0 offset:8 ; 4-byte Folded Spill
	;; [unrolled: 1-line block ×3, first 2 shown]
                                        ; implicit-def: $vgpr45
                                        ; implicit-def: $vgpr49
	s_branch .LBB27_16
.LBB27_14:                              ;   in Loop: Header=BB27_16 Depth=1
	s_or_b64 exec, exec, s[8:9]
	v_mov_b32_e32 v38, s38
.LBB27_15:                              ;   in Loop: Header=BB27_16 Depth=1
	s_or_b64 exec, exec, s[6:7]
	v_cmp_le_u32_e32 vcc, s19, v38
	v_mov_b32_e32 v0, v38
	s_or_b64 s[28:29], vcc, s[28:29]
	buffer_store_dword v0, off, s[44:47], 0 offset:104 ; 4-byte Folded Spill
	s_nop 0
	buffer_store_dword v1, off, s[44:47], 0 offset:108 ; 4-byte Folded Spill
	s_andn2_b64 exec, exec, s[28:29]
	s_cbranch_execz .LBB27_173
.LBB27_16:                              ; =>This Loop Header: Depth=1
                                        ;     Child Loop BB27_19 Depth 2
                                        ;     Child Loop BB27_171 Depth 2
	s_and_b64 vcc, exec, s[2:3]
	s_mov_b32 s10, 0
	s_cbranch_vccnz .LBB27_40
; %bb.17:                               ;   in Loop: Header=BB27_16 Depth=1
	buffer_load_dword v38, off, s[44:47], 0 offset:104 ; 4-byte Folded Reload
	buffer_load_dword v39, off, s[44:47], 0 offset:108 ; 4-byte Folded Reload
	v_mov_b32_e32 v40, 0
	s_waitcnt vmcnt(0)
	v_mov_b32_e32 v39, v40
	v_mov_b32_e32 v9, 0
	v_mul_lo_u32 v0, v38, s18
	buffer_store_dword v0, off, s[44:47], 0 offset:100 ; 4-byte Folded Spill
	v_mov_b32_e32 v0, 0
	v_mov_b32_e32 v38, 0
	buffer_store_dword v0, off, s[44:47], 0 offset:48 ; 4-byte Folded Spill
	buffer_store_dword v38, off, s[44:47], 0 offset:52 ; 4-byte Folded Spill
	s_nop 0
	buffer_store_dword v39, off, s[44:47], 0 offset:56 ; 4-byte Folded Spill
	v_mov_b32_e32 v38, 0
	v_mov_b32_e32 v0, 0
	buffer_store_dword v38, off, s[44:47], 0 offset:60 ; 4-byte Folded Spill
	s_nop 0
	buffer_store_dword v39, off, s[44:47], 0 offset:64 ; 4-byte Folded Spill
	v_mov_b32_e32 v38, 0
	buffer_store_dword v38, off, s[44:47], 0 offset:68 ; 4-byte Folded Spill
	s_nop 0
	buffer_store_dword v39, off, s[44:47], 0 offset:72 ; 4-byte Folded Spill
	;; [unrolled: 4-line block ×7, first 2 shown]
	v_mov_b32_e32 v38, 0
	buffer_store_dword v0, off, s[44:47], 0 offset:92 ; 4-byte Folded Spill
	buffer_store_dword v38, off, s[44:47], 0 offset:84 ; 4-byte Folded Spill
	s_nop 0
	buffer_store_dword v39, off, s[44:47], 0 offset:88 ; 4-byte Folded Spill
	s_branch .LBB27_19
.LBB27_18:                              ;   in Loop: Header=BB27_19 Depth=2
	s_or_b64 exec, exec, s[4:5]
	s_addk_i32 s10, 0x200
	s_cmp_ge_u32 s10, s18
	s_cbranch_scc1 .LBB27_39
.LBB27_19:                              ;   Parent Loop BB27_16 Depth=1
                                        ; =>  This Inner Loop Header: Depth=2
	buffer_load_dword v0, off, s[44:47], 0 offset:96 ; 4-byte Folded Reload
	s_waitcnt vmcnt(0)
	v_add_u32_e32 v50, s10, v0
	v_cmp_gt_u32_e32 vcc, s18, v50
	s_and_saveexec_b64 s[6:7], vcc
	s_cbranch_execz .LBB27_33
; %bb.20:                               ;   in Loop: Header=BB27_19 Depth=2
	buffer_load_dword v0, off, s[44:47], 0 offset:100 ; 4-byte Folded Reload
	s_waitcnt vmcnt(0)
	v_add_u32_e32 v0, v50, v0
	v_lshlrev_b64 v[10:11], 1, v[0:1]
	s_waitcnt lgkmcnt(0)
	v_mov_b32_e32 v0, s23
	v_add_co_u32_e64 v18, s[4:5], s22, v10
	v_addc_co_u32_e64 v19, s[4:5], v0, v11, s[4:5]
	v_mov_b32_e32 v0, s27
	v_add_co_u32_e64 v20, s[4:5], s26, v18
	v_addc_co_u32_e64 v21, s[4:5], v19, v0, s[4:5]
	v_add_co_u32_e64 v26, s[4:5], s26, v20
	v_addc_co_u32_e64 v27, s[4:5], v21, v0, s[4:5]
	;; [unrolled: 2-line block ×5, first 2 shown]
	global_load_dwordx4 v[10:13], v[18:19], off glc slc
	global_load_dwordx4 v[14:17], v[20:21], off glc slc
	s_nop 0
	global_load_dwordx4 v[18:21], v[26:27], off glc slc
	global_load_dwordx4 v[22:25], v[28:29], off glc slc
	s_nop 0
	global_load_dwordx4 v[26:29], v[34:35], off glc slc
	global_load_dwordx4 v[30:33], v[36:37], off glc slc
	v_add_co_u32_e64 v34, s[4:5], s26, v36
	v_addc_co_u32_e64 v35, s[4:5], v37, v0, s[4:5]
	global_load_dwordx4 v[34:37], v[34:35], off glc slc
	v_cmp_lt_u32_e64 s[4:5], s39, v50
                                        ; implicit-def: $vgpr0
	buffer_store_dword v0, off, s[44:47], 0 ; 4-byte Folded Spill
	s_nop 0
	buffer_store_dword v1, off, s[44:47], 0 offset:4 ; 4-byte Folded Spill
	buffer_store_dword v2, off, s[44:47], 0 offset:8 ; 4-byte Folded Spill
	buffer_store_dword v3, off, s[44:47], 0 offset:12 ; 4-byte Folded Spill
	s_and_saveexec_b64 s[8:9], s[4:5]
	s_xor_b64 s[8:9], exec, s[8:9]
	s_cbranch_execz .LBB27_22
; %bb.21:                               ;   in Loop: Header=BB27_19 Depth=2
	v_mov_b32_e32 v51, v1
	v_lshlrev_b64 v[38:39], 1, v[50:51]
	v_mov_b32_e32 v0, s21
	v_add_co_u32_e64 v38, s[4:5], s20, v38
	v_addc_co_u32_e64 v39, s[4:5], v0, v39, s[4:5]
	global_load_dwordx4 v[38:41], v[38:39], off
	s_waitcnt vmcnt(0)
	buffer_store_dword v38, off, s[44:47], 0 ; 4-byte Folded Spill
	s_nop 0
	buffer_store_dword v39, off, s[44:47], 0 offset:4 ; 4-byte Folded Spill
	buffer_store_dword v40, off, s[44:47], 0 offset:8 ; 4-byte Folded Spill
	;; [unrolled: 1-line block ×3, first 2 shown]
.LBB27_22:                              ;   in Loop: Header=BB27_19 Depth=2
	s_andn2_saveexec_b64 s[4:5], s[8:9]
	s_cbranch_execz .LBB27_24
; %bb.23:                               ;   in Loop: Header=BB27_19 Depth=2
	v_lshlrev_b32_e32 v0, 1, v50
	ds_read_b128 v[38:41], v0
	s_waitcnt lgkmcnt(0)
	buffer_store_dword v38, off, s[44:47], 0 ; 4-byte Folded Spill
	s_nop 0
	buffer_store_dword v39, off, s[44:47], 0 offset:4 ; 4-byte Folded Spill
	buffer_store_dword v40, off, s[44:47], 0 offset:8 ; 4-byte Folded Spill
	;; [unrolled: 1-line block ×3, first 2 shown]
.LBB27_24:                              ;   in Loop: Header=BB27_19 Depth=2
	s_or_b64 exec, exec, s[4:5]
	v_add_u32_e32 v0, s18, v50
	v_cmp_lt_u32_e64 s[4:5], s39, v0
                                        ; implicit-def: $vgpr42
	s_and_saveexec_b64 s[8:9], s[4:5]
	s_xor_b64 s[8:9], exec, s[8:9]
	s_cbranch_execz .LBB27_26
; %bb.25:                               ;   in Loop: Header=BB27_19 Depth=2
	v_lshlrev_b64 v[42:43], 1, v[0:1]
	v_mov_b32_e32 v38, s21
	v_add_co_u32_e64 v42, s[4:5], s20, v42
	v_addc_co_u32_e64 v43, s[4:5], v38, v43, s[4:5]
	global_load_dwordx4 v[42:45], v[42:43], off
.LBB27_26:                              ;   in Loop: Header=BB27_19 Depth=2
	s_andn2_saveexec_b64 s[4:5], s[8:9]
	s_cbranch_execz .LBB27_28
; %bb.27:                               ;   in Loop: Header=BB27_19 Depth=2
	v_lshlrev_b32_e32 v38, 1, v0
	s_waitcnt vmcnt(0)
	ds_read_b128 v[42:45], v38
.LBB27_28:                              ;   in Loop: Header=BB27_19 Depth=2
	s_or_b64 exec, exec, s[4:5]
	v_add_u32_e32 v0, s18, v0
	v_cmp_lt_u32_e64 s[4:5], s39, v0
                                        ; implicit-def: $vgpr46
	s_and_saveexec_b64 s[8:9], s[4:5]
	s_xor_b64 s[8:9], exec, s[8:9]
	s_cbranch_execz .LBB27_30
; %bb.29:                               ;   in Loop: Header=BB27_19 Depth=2
	v_lshlrev_b64 v[46:47], 1, v[0:1]
	v_mov_b32_e32 v0, s21
	v_add_co_u32_e64 v46, s[4:5], s20, v46
	v_addc_co_u32_e64 v47, s[4:5], v0, v47, s[4:5]
	global_load_dwordx4 v[46:49], v[46:47], off
.LBB27_30:                              ;   in Loop: Header=BB27_19 Depth=2
	s_andn2_saveexec_b64 s[4:5], s[8:9]
	s_cbranch_execz .LBB27_32
; %bb.31:                               ;   in Loop: Header=BB27_19 Depth=2
	v_lshlrev_b32_e32 v0, 1, v0
	s_waitcnt vmcnt(0)
	ds_read2_b32 v[46:47], v0 offset1:1
	ds_read2_b32 v[48:49], v0 offset0:2 offset1:3
.LBB27_32:                              ;   in Loop: Header=BB27_19 Depth=2
	s_or_b64 exec, exec, s[4:5]
.LBB27_33:                              ;   in Loop: Header=BB27_19 Depth=2
	s_or_b64 exec, exec, s[6:7]
	s_waitcnt vmcnt(10)
	v_and_b32_e32 v125, 0xffff0000, v10
	v_lshlrev_b32_e32 v124, 16, v10
	v_and_b32_e32 v123, 0xffff0000, v11
	v_lshlrev_b32_e32 v122, 16, v11
	v_and_b32_e32 v121, 0xffff0000, v12
	v_lshlrev_b32_e32 v120, 16, v12
	v_and_b32_e32 v119, 0xffff0000, v13
	v_lshlrev_b32_e32 v118, 16, v13
	s_waitcnt vmcnt(9)
	v_and_b32_e32 v117, 0xffff0000, v14
	v_lshlrev_b32_e32 v116, 16, v14
	v_and_b32_e32 v115, 0xffff0000, v15
	v_lshlrev_b32_e32 v114, 16, v15
	v_and_b32_e32 v113, 0xffff0000, v16
	v_lshlrev_b32_e32 v112, 16, v16
	v_and_b32_e32 v111, 0xffff0000, v17
	v_lshlrev_b32_e32 v110, 16, v17
	s_waitcnt vmcnt(8)
	v_and_b32_e32 v109, 0xffff0000, v18
	v_lshlrev_b32_e32 v108, 16, v18
	v_and_b32_e32 v107, 0xffff0000, v19
	v_lshlrev_b32_e32 v106, 16, v19
	v_and_b32_e32 v105, 0xffff0000, v20
	v_lshlrev_b32_e32 v104, 16, v20
	v_and_b32_e32 v103, 0xffff0000, v21
	v_lshlrev_b32_e32 v102, 16, v21
	s_waitcnt vmcnt(7)
	v_and_b32_e32 v101, 0xffff0000, v22
	v_lshlrev_b32_e32 v100, 16, v22
	v_and_b32_e32 v99, 0xffff0000, v23
	v_lshlrev_b32_e32 v98, 16, v23
	v_and_b32_e32 v97, 0xffff0000, v24
	v_lshlrev_b32_e32 v96, 16, v24
	v_and_b32_e32 v95, 0xffff0000, v25
	v_lshlrev_b32_e32 v94, 16, v25
	s_waitcnt vmcnt(6)
	v_and_b32_e32 v93, 0xffff0000, v26
	v_lshlrev_b32_e32 v92, 16, v26
	v_and_b32_e32 v91, 0xffff0000, v27
	v_lshlrev_b32_e32 v90, 16, v27
	v_and_b32_e32 v89, 0xffff0000, v28
	v_lshlrev_b32_e32 v88, 16, v28
	v_and_b32_e32 v87, 0xffff0000, v29
	v_lshlrev_b32_e32 v86, 16, v29
	s_waitcnt vmcnt(5)
	v_and_b32_e32 v85, 0xffff0000, v30
	v_lshlrev_b32_e32 v84, 16, v30
	v_and_b32_e32 v83, 0xffff0000, v31
	v_lshlrev_b32_e32 v82, 16, v31
	v_and_b32_e32 v81, 0xffff0000, v32
	v_lshlrev_b32_e32 v80, 16, v32
	v_and_b32_e32 v79, 0xffff0000, v33
	v_lshlrev_b32_e32 v78, 16, v33
	s_waitcnt vmcnt(4)
	v_and_b32_e32 v77, 0xffff0000, v34
	v_lshlrev_b32_e32 v76, 16, v34
	v_and_b32_e32 v75, 0xffff0000, v35
	v_lshlrev_b32_e32 v74, 16, v35
	v_and_b32_e32 v73, 0xffff0000, v36
	v_lshlrev_b32_e32 v72, 16, v36
	v_and_b32_e32 v71, 0xffff0000, v37
	v_lshlrev_b32_e32 v70, 16, v37
	s_and_saveexec_b64 s[4:5], vcc
	s_cbranch_execnz .LBB27_36
; %bb.34:                               ;   in Loop: Header=BB27_19 Depth=2
	s_or_b64 exec, exec, s[4:5]
	s_and_saveexec_b64 s[4:5], vcc
	s_cbranch_execnz .LBB27_37
.LBB27_35:                              ;   in Loop: Header=BB27_19 Depth=2
	s_or_b64 exec, exec, s[4:5]
	s_and_saveexec_b64 s[4:5], vcc
	s_cbranch_execz .LBB27_18
	s_branch .LBB27_38
.LBB27_36:                              ;   in Loop: Header=BB27_19 Depth=2
	buffer_load_dword v38, off, s[44:47], 0 ; 4-byte Folded Reload
	buffer_load_dword v39, off, s[44:47], 0 offset:4 ; 4-byte Folded Reload
	buffer_load_dword v40, off, s[44:47], 0 offset:8 ; 4-byte Folded Reload
	;; [unrolled: 1-line block ×3, first 2 shown]
	s_waitcnt vmcnt(3)
	v_and_b32_e32 v127, 0xffff0000, v38
	v_lshlrev_b32_e32 v126, 16, v38
	s_waitcnt vmcnt(2)
	v_and_b32_e32 v51, 0xffff0000, v39
	v_lshlrev_b32_e32 v50, 16, v39
	v_pk_mul_f32 v[56:57], v[126:127], v[124:125]
	v_pk_mul_f32 v[54:55], v[50:51], v[122:123]
	v_mov_b32_e32 v52, v56
	v_mov_b32_e32 v53, v54
	;; [unrolled: 1-line block ×3, first 2 shown]
	v_pk_add_f32 v[52:53], v[52:53], v[54:55]
	v_add_f32_e32 v0, v9, v52
	v_add_f32_e32 v0, v0, v53
	s_waitcnt vmcnt(1)
	v_and_b32_e32 v53, 0xffff0000, v40
	v_lshlrev_b32_e32 v52, 16, v40
	s_waitcnt vmcnt(0)
	v_and_b32_e32 v55, 0xffff0000, v41
	v_lshlrev_b32_e32 v54, 16, v41
	v_pk_mul_f32 v[60:61], v[52:53], v[120:121]
	v_pk_mul_f32 v[58:59], v[54:55], v[118:119]
	v_mov_b32_e32 v56, v60
	v_mov_b32_e32 v57, v58
	;; [unrolled: 1-line block ×3, first 2 shown]
	v_pk_add_f32 v[56:57], v[56:57], v[58:59]
	v_add_f32_e32 v0, v0, v56
	v_add_f32_e32 v9, v0, v57
	v_pk_mul_f32 v[56:57], v[126:127], v[116:117]
	v_pk_mul_f32 v[64:65], v[126:127], v[108:109]
	v_mov_b32_e32 v40, v64
	v_mov_b32_e32 v41, v56
	;; [unrolled: 1-line block ×3, first 2 shown]
	v_pk_add_f32 v[40:41], v[40:41], v[56:57]
	buffer_load_dword v56, off, s[44:47], 0 offset:68 ; 4-byte Folded Reload
	buffer_load_dword v57, off, s[44:47], 0 offset:72 ; 4-byte Folded Reload
	v_pk_mul_f32 v[58:59], v[50:51], v[114:115]
	v_pk_mul_f32 v[66:67], v[50:51], v[106:107]
	;; [unrolled: 1-line block ×7, first 2 shown]
	s_waitcnt vmcnt(0)
	v_pk_add_f32 v[40:41], v[56:57], v[40:41]
	v_mov_b32_e32 v56, v66
	v_mov_b32_e32 v57, v58
	v_mov_b32_e32 v58, v67
	v_pk_add_f32 v[56:57], v[56:57], v[58:59]
	v_pk_add_f32 v[40:41], v[40:41], v[56:57]
	v_mov_b32_e32 v56, v68
	v_mov_b32_e32 v57, v60
	v_mov_b32_e32 v60, v69
	v_pk_add_f32 v[56:57], v[56:57], v[60:61]
	;; [unrolled: 5-line block ×3, first 2 shown]
	v_pk_add_f32 v[38:39], v[40:41], v[38:39]
	buffer_store_dword v38, off, s[44:47], 0 offset:68 ; 4-byte Folded Spill
	s_nop 0
	buffer_store_dword v39, off, s[44:47], 0 offset:72 ; 4-byte Folded Spill
	v_pk_mul_f32 v[38:39], v[126:127], v[100:101]
	v_pk_mul_f32 v[60:61], v[126:127], v[92:93]
	v_mov_b32_e32 v68, v60
	v_mov_b32_e32 v69, v38
	;; [unrolled: 1-line block ×3, first 2 shown]
	buffer_load_dword v60, off, s[44:47], 0 offset:60 ; 4-byte Folded Reload
	buffer_load_dword v61, off, s[44:47], 0 offset:64 ; 4-byte Folded Reload
	v_pk_mul_f32 v[40:41], v[50:51], v[98:99]
	v_pk_mul_f32 v[62:63], v[50:51], v[90:91]
	v_pk_add_f32 v[38:39], v[68:69], v[38:39]
	v_pk_mul_f32 v[56:57], v[52:53], v[96:97]
	v_pk_mul_f32 v[58:59], v[54:55], v[94:95]
	;; [unrolled: 1-line block ×3, first 2 shown]
	s_waitcnt vmcnt(0)
	v_pk_add_f32 v[38:39], v[60:61], v[38:39]
	v_mov_b32_e32 v60, v62
	v_mov_b32_e32 v61, v40
	v_mov_b32_e32 v40, v63
	v_pk_add_f32 v[40:41], v[60:61], v[40:41]
	v_pk_add_f32 v[38:39], v[38:39], v[40:41]
	v_mov_b32_e32 v40, v64
	v_mov_b32_e32 v41, v56
	v_mov_b32_e32 v56, v65
	v_pk_add_f32 v[40:41], v[40:41], v[56:57]
	;; [unrolled: 5-line block ×3, first 2 shown]
	v_pk_add_f32 v[38:39], v[38:39], v[40:41]
	buffer_store_dword v38, off, s[44:47], 0 offset:60 ; 4-byte Folded Spill
	s_nop 0
	buffer_store_dword v39, off, s[44:47], 0 offset:64 ; 4-byte Folded Spill
	v_pk_mul_f32 v[38:39], v[126:127], v[84:85]
	v_pk_mul_f32 v[60:61], v[126:127], v[76:77]
	v_mov_b32_e32 v62, v60
	v_mov_b32_e32 v63, v38
	;; [unrolled: 1-line block ×3, first 2 shown]
	buffer_load_dword v60, off, s[44:47], 0 offset:52 ; 4-byte Folded Reload
	buffer_load_dword v61, off, s[44:47], 0 offset:56 ; 4-byte Folded Reload
	v_pk_mul_f32 v[40:41], v[50:51], v[82:83]
	v_pk_mul_f32 v[50:51], v[50:51], v[74:75]
	v_pk_add_f32 v[38:39], v[62:63], v[38:39]
	v_pk_mul_f32 v[56:57], v[52:53], v[80:81]
	v_pk_mul_f32 v[52:53], v[52:53], v[72:73]
	;; [unrolled: 1-line block ×4, first 2 shown]
	s_waitcnt vmcnt(0)
	v_pk_add_f32 v[38:39], v[60:61], v[38:39]
	v_mov_b32_e32 v60, v50
	v_mov_b32_e32 v61, v40
	v_mov_b32_e32 v40, v51
	v_pk_add_f32 v[40:41], v[60:61], v[40:41]
	v_pk_add_f32 v[38:39], v[38:39], v[40:41]
	v_mov_b32_e32 v40, v52
	v_mov_b32_e32 v41, v56
	v_mov_b32_e32 v56, v53
	v_pk_add_f32 v[40:41], v[40:41], v[56:57]
	;; [unrolled: 5-line block ×3, first 2 shown]
	v_pk_add_f32 v[38:39], v[38:39], v[40:41]
	buffer_store_dword v38, off, s[44:47], 0 offset:52 ; 4-byte Folded Spill
	s_nop 0
	buffer_store_dword v39, off, s[44:47], 0 offset:56 ; 4-byte Folded Spill
	s_or_b64 exec, exec, s[4:5]
	s_and_saveexec_b64 s[4:5], vcc
	s_cbranch_execz .LBB27_35
.LBB27_37:                              ;   in Loop: Header=BB27_19 Depth=2
	buffer_load_dword v0, off, s[44:47], 0 offset:48 ; 4-byte Folded Reload
	s_waitcnt vmcnt(1) lgkmcnt(0)
	v_and_b32_e32 v127, 0xffff0000, v42
	v_lshlrev_b32_e32 v126, 16, v42
	v_and_b32_e32 v51, 0xffff0000, v43
	v_lshlrev_b32_e32 v50, 16, v43
	v_pk_mul_f32 v[38:39], v[126:127], v[124:125]
	v_pk_mul_f32 v[40:41], v[50:51], v[122:123]
	v_mov_b32_e32 v52, v38
	v_mov_b32_e32 v53, v40
	;; [unrolled: 1-line block ×3, first 2 shown]
	v_pk_add_f32 v[38:39], v[52:53], v[40:41]
	v_and_b32_e32 v53, 0xffff0000, v44
	v_lshlrev_b32_e32 v52, 16, v44
	v_and_b32_e32 v55, 0xffff0000, v45
	v_lshlrev_b32_e32 v54, 16, v45
	v_pk_mul_f32 v[40:41], v[54:55], v[118:119]
	v_mov_b32_e32 v57, v40
	v_pk_mul_f32 v[60:61], v[126:127], v[108:109]
	v_mov_b32_e32 v68, v60
	v_pk_mul_f32 v[62:63], v[50:51], v[106:107]
	v_pk_mul_f32 v[64:65], v[52:53], v[104:105]
	;; [unrolled: 1-line block ×4, first 2 shown]
	s_waitcnt vmcnt(0)
	v_add_f32_e32 v0, v0, v38
	v_add_f32_e32 v0, v0, v39
	v_pk_mul_f32 v[38:39], v[52:53], v[120:121]
	v_mov_b32_e32 v56, v38
	v_mov_b32_e32 v40, v39
	v_pk_add_f32 v[38:39], v[56:57], v[40:41]
	v_add_f32_e32 v0, v0, v38
	v_add_f32_e32 v0, v0, v39
	buffer_store_dword v0, off, s[44:47], 0 offset:48 ; 4-byte Folded Spill
	v_pk_mul_f32 v[38:39], v[126:127], v[116:117]
	v_mov_b32_e32 v69, v38
	v_mov_b32_e32 v38, v61
	buffer_load_dword v60, off, s[44:47], 0 offset:40 ; 4-byte Folded Reload
	buffer_load_dword v61, off, s[44:47], 0 offset:44 ; 4-byte Folded Reload
	v_pk_mul_f32 v[40:41], v[50:51], v[114:115]
	v_pk_add_f32 v[38:39], v[68:69], v[38:39]
	v_pk_mul_f32 v[56:57], v[52:53], v[112:113]
	s_waitcnt vmcnt(0)
	v_pk_add_f32 v[38:39], v[60:61], v[38:39]
	v_mov_b32_e32 v60, v62
	v_mov_b32_e32 v61, v40
	v_mov_b32_e32 v40, v63
	v_pk_add_f32 v[40:41], v[60:61], v[40:41]
	v_pk_add_f32 v[38:39], v[38:39], v[40:41]
	v_mov_b32_e32 v40, v64
	v_mov_b32_e32 v41, v56
	v_mov_b32_e32 v56, v65
	v_pk_add_f32 v[40:41], v[40:41], v[56:57]
	v_pk_add_f32 v[38:39], v[38:39], v[40:41]
	v_mov_b32_e32 v40, v66
	v_mov_b32_e32 v41, v58
	v_mov_b32_e32 v58, v67
	v_pk_add_f32 v[40:41], v[40:41], v[58:59]
	v_pk_add_f32 v[38:39], v[38:39], v[40:41]
	buffer_store_dword v38, off, s[44:47], 0 offset:40 ; 4-byte Folded Spill
	s_nop 0
	buffer_store_dword v39, off, s[44:47], 0 offset:44 ; 4-byte Folded Spill
	v_pk_mul_f32 v[38:39], v[126:127], v[100:101]
	v_pk_mul_f32 v[60:61], v[126:127], v[92:93]
	v_mov_b32_e32 v68, v60
	v_mov_b32_e32 v69, v38
	;; [unrolled: 1-line block ×3, first 2 shown]
	buffer_load_dword v60, off, s[44:47], 0 offset:32 ; 4-byte Folded Reload
	buffer_load_dword v61, off, s[44:47], 0 offset:36 ; 4-byte Folded Reload
	v_pk_mul_f32 v[40:41], v[50:51], v[98:99]
	v_pk_mul_f32 v[62:63], v[50:51], v[90:91]
	v_pk_add_f32 v[38:39], v[68:69], v[38:39]
	v_pk_mul_f32 v[56:57], v[52:53], v[96:97]
	v_pk_mul_f32 v[64:65], v[52:53], v[88:89]
	;; [unrolled: 1-line block ×4, first 2 shown]
	s_waitcnt vmcnt(0)
	v_pk_add_f32 v[38:39], v[60:61], v[38:39]
	v_mov_b32_e32 v60, v62
	v_mov_b32_e32 v61, v40
	v_mov_b32_e32 v40, v63
	v_pk_add_f32 v[40:41], v[60:61], v[40:41]
	v_pk_add_f32 v[38:39], v[38:39], v[40:41]
	v_mov_b32_e32 v40, v64
	v_mov_b32_e32 v41, v56
	v_mov_b32_e32 v56, v65
	v_pk_add_f32 v[40:41], v[40:41], v[56:57]
	;; [unrolled: 5-line block ×3, first 2 shown]
	v_pk_add_f32 v[38:39], v[38:39], v[40:41]
	buffer_store_dword v38, off, s[44:47], 0 offset:32 ; 4-byte Folded Spill
	s_nop 0
	buffer_store_dword v39, off, s[44:47], 0 offset:36 ; 4-byte Folded Spill
	v_pk_mul_f32 v[38:39], v[126:127], v[84:85]
	v_pk_mul_f32 v[60:61], v[126:127], v[76:77]
	v_mov_b32_e32 v62, v60
	v_mov_b32_e32 v63, v38
	v_mov_b32_e32 v38, v61
	buffer_load_dword v60, off, s[44:47], 0 offset:24 ; 4-byte Folded Reload
	buffer_load_dword v61, off, s[44:47], 0 offset:28 ; 4-byte Folded Reload
	v_pk_mul_f32 v[40:41], v[50:51], v[82:83]
	v_pk_mul_f32 v[50:51], v[50:51], v[74:75]
	v_pk_add_f32 v[38:39], v[62:63], v[38:39]
	v_pk_mul_f32 v[56:57], v[52:53], v[80:81]
	v_pk_mul_f32 v[52:53], v[52:53], v[72:73]
	;; [unrolled: 1-line block ×4, first 2 shown]
	s_waitcnt vmcnt(0)
	v_pk_add_f32 v[38:39], v[60:61], v[38:39]
	v_mov_b32_e32 v60, v50
	v_mov_b32_e32 v61, v40
	v_mov_b32_e32 v40, v51
	v_pk_add_f32 v[40:41], v[60:61], v[40:41]
	v_pk_add_f32 v[38:39], v[38:39], v[40:41]
	v_mov_b32_e32 v40, v52
	v_mov_b32_e32 v41, v56
	v_mov_b32_e32 v56, v53
	v_pk_add_f32 v[40:41], v[40:41], v[56:57]
	;; [unrolled: 5-line block ×3, first 2 shown]
	v_pk_add_f32 v[38:39], v[38:39], v[40:41]
	buffer_store_dword v38, off, s[44:47], 0 offset:24 ; 4-byte Folded Spill
	s_nop 0
	buffer_store_dword v39, off, s[44:47], 0 offset:28 ; 4-byte Folded Spill
	s_or_b64 exec, exec, s[4:5]
	s_and_saveexec_b64 s[4:5], vcc
	s_cbranch_execz .LBB27_18
.LBB27_38:                              ;   in Loop: Header=BB27_19 Depth=2
	buffer_load_dword v0, off, s[44:47], 0 offset:92 ; 4-byte Folded Reload
	s_waitcnt vmcnt(1) lgkmcnt(0)
	v_and_b32_e32 v127, 0xffff0000, v46
	v_lshlrev_b32_e32 v126, 16, v46
	v_pk_mul_f32 v[38:39], v[126:127], v[124:125]
	v_and_b32_e32 v125, 0xffff0000, v47
	v_lshlrev_b32_e32 v124, 16, v47
	v_pk_mul_f32 v[40:41], v[124:125], v[122:123]
	v_mov_b32_e32 v50, v38
	v_mov_b32_e32 v51, v40
	;; [unrolled: 1-line block ×3, first 2 shown]
	v_pk_add_f32 v[38:39], v[50:51], v[40:41]
	v_and_b32_e32 v51, 0xffff0000, v48
	v_lshlrev_b32_e32 v50, 16, v48
	v_and_b32_e32 v53, 0xffff0000, v49
	v_lshlrev_b32_e32 v52, 16, v49
	v_pk_mul_f32 v[40:41], v[52:53], v[118:119]
	v_mov_b32_e32 v55, v40
	v_pk_mul_f32 v[58:59], v[126:127], v[108:109]
	v_mov_b32_e32 v66, v58
	v_pk_mul_f32 v[60:61], v[124:125], v[106:107]
	v_pk_mul_f32 v[62:63], v[50:51], v[104:105]
	;; [unrolled: 1-line block ×4, first 2 shown]
	s_waitcnt vmcnt(0)
	v_add_f32_e32 v0, v0, v38
	v_add_f32_e32 v0, v0, v39
	v_pk_mul_f32 v[38:39], v[50:51], v[120:121]
	v_mov_b32_e32 v54, v38
	v_mov_b32_e32 v40, v39
	v_pk_add_f32 v[38:39], v[54:55], v[40:41]
	v_add_f32_e32 v0, v0, v38
	v_add_f32_e32 v0, v0, v39
	buffer_store_dword v0, off, s[44:47], 0 offset:92 ; 4-byte Folded Spill
	v_pk_mul_f32 v[38:39], v[126:127], v[116:117]
	v_mov_b32_e32 v67, v38
	v_mov_b32_e32 v38, v59
	buffer_load_dword v58, off, s[44:47], 0 offset:84 ; 4-byte Folded Reload
	buffer_load_dword v59, off, s[44:47], 0 offset:88 ; 4-byte Folded Reload
	v_pk_mul_f32 v[40:41], v[124:125], v[114:115]
	v_pk_add_f32 v[38:39], v[66:67], v[38:39]
	v_pk_mul_f32 v[54:55], v[50:51], v[112:113]
	s_waitcnt vmcnt(0)
	v_pk_add_f32 v[38:39], v[58:59], v[38:39]
	v_mov_b32_e32 v58, v60
	v_mov_b32_e32 v59, v40
	v_mov_b32_e32 v40, v61
	v_pk_add_f32 v[40:41], v[58:59], v[40:41]
	v_pk_add_f32 v[38:39], v[38:39], v[40:41]
	v_mov_b32_e32 v40, v62
	v_mov_b32_e32 v41, v54
	v_mov_b32_e32 v54, v63
	v_pk_add_f32 v[40:41], v[40:41], v[54:55]
	;; [unrolled: 5-line block ×3, first 2 shown]
	v_pk_add_f32 v[38:39], v[38:39], v[40:41]
	buffer_store_dword v38, off, s[44:47], 0 offset:84 ; 4-byte Folded Spill
	s_nop 0
	buffer_store_dword v39, off, s[44:47], 0 offset:88 ; 4-byte Folded Spill
	v_pk_mul_f32 v[38:39], v[126:127], v[100:101]
	v_pk_mul_f32 v[58:59], v[126:127], v[92:93]
	v_mov_b32_e32 v66, v58
	v_mov_b32_e32 v67, v38
	v_mov_b32_e32 v38, v59
	buffer_load_dword v58, off, s[44:47], 0 offset:76 ; 4-byte Folded Reload
	buffer_load_dword v59, off, s[44:47], 0 offset:80 ; 4-byte Folded Reload
	v_pk_mul_f32 v[40:41], v[124:125], v[98:99]
	v_pk_mul_f32 v[60:61], v[124:125], v[90:91]
	v_pk_add_f32 v[38:39], v[66:67], v[38:39]
	v_pk_mul_f32 v[54:55], v[50:51], v[96:97]
	v_pk_mul_f32 v[62:63], v[50:51], v[88:89]
	;; [unrolled: 1-line block ×4, first 2 shown]
	s_waitcnt vmcnt(0)
	v_pk_add_f32 v[38:39], v[58:59], v[38:39]
	v_mov_b32_e32 v58, v60
	v_mov_b32_e32 v59, v40
	v_mov_b32_e32 v40, v61
	v_pk_add_f32 v[40:41], v[58:59], v[40:41]
	v_pk_add_f32 v[38:39], v[38:39], v[40:41]
	v_mov_b32_e32 v40, v62
	v_mov_b32_e32 v41, v54
	v_mov_b32_e32 v54, v63
	v_pk_add_f32 v[40:41], v[40:41], v[54:55]
	;; [unrolled: 5-line block ×3, first 2 shown]
	v_pk_add_f32 v[38:39], v[38:39], v[40:41]
	buffer_store_dword v38, off, s[44:47], 0 offset:76 ; 4-byte Folded Spill
	s_nop 0
	buffer_store_dword v39, off, s[44:47], 0 offset:80 ; 4-byte Folded Spill
	v_pk_mul_f32 v[38:39], v[126:127], v[84:85]
	v_pk_mul_f32 v[58:59], v[126:127], v[76:77]
	v_mov_b32_e32 v62, v58
	v_mov_b32_e32 v63, v38
	;; [unrolled: 1-line block ×3, first 2 shown]
	buffer_load_dword v58, off, s[44:47], 0 offset:16 ; 4-byte Folded Reload
	buffer_load_dword v59, off, s[44:47], 0 offset:20 ; 4-byte Folded Reload
	v_pk_mul_f32 v[40:41], v[124:125], v[82:83]
	v_pk_mul_f32 v[60:61], v[124:125], v[74:75]
	v_pk_add_f32 v[38:39], v[62:63], v[38:39]
	v_pk_mul_f32 v[54:55], v[50:51], v[80:81]
	v_pk_mul_f32 v[50:51], v[50:51], v[72:73]
	;; [unrolled: 1-line block ×4, first 2 shown]
	s_waitcnt vmcnt(0)
	v_pk_add_f32 v[38:39], v[58:59], v[38:39]
	v_mov_b32_e32 v58, v60
	v_mov_b32_e32 v59, v40
	v_mov_b32_e32 v40, v61
	v_pk_add_f32 v[40:41], v[58:59], v[40:41]
	v_pk_add_f32 v[38:39], v[38:39], v[40:41]
	v_mov_b32_e32 v40, v50
	v_mov_b32_e32 v41, v54
	v_mov_b32_e32 v54, v51
	v_pk_add_f32 v[40:41], v[40:41], v[54:55]
	;; [unrolled: 5-line block ×3, first 2 shown]
	v_pk_add_f32 v[38:39], v[38:39], v[40:41]
	buffer_store_dword v38, off, s[44:47], 0 offset:16 ; 4-byte Folded Spill
	s_nop 0
	buffer_store_dword v39, off, s[44:47], 0 offset:20 ; 4-byte Folded Spill
	s_branch .LBB27_18
.LBB27_39:                              ;   in Loop: Header=BB27_16 Depth=1
	buffer_load_dword v52, off, s[44:47], 0 offset:76 ; 4-byte Folded Reload
	buffer_load_dword v53, off, s[44:47], 0 offset:80 ; 4-byte Folded Reload
	;; [unrolled: 1-line block ×5, first 2 shown]
	s_branch .LBB27_41
.LBB27_40:                              ;   in Loop: Header=BB27_16 Depth=1
	s_waitcnt vmcnt(2)
	v_mov_b32_e32 v39, v1
	v_mov_b32_e32 v38, v1
	;; [unrolled: 1-line block ×7, first 2 shown]
	buffer_store_dword v38, off, s[44:47], 0 offset:16 ; 4-byte Folded Spill
	s_nop 0
	buffer_store_dword v39, off, s[44:47], 0 offset:20 ; 4-byte Folded Spill
	buffer_store_dword v38, off, s[44:47], 0 offset:40 ; 4-byte Folded Spill
	s_nop 0
	buffer_store_dword v39, off, s[44:47], 0 offset:44 ; 4-byte Folded Spill
	;; [unrolled: 3-line block ×7, first 2 shown]
	v_mov_b32_e32 v9, v1
	buffer_store_dword v0, off, s[44:47], 0 offset:48 ; 4-byte Folded Spill
	v_mov_b32_e32 v41, v1
.LBB27_41:                              ;   in Loop: Header=BB27_16 Depth=1
	buffer_load_dword v68, off, s[44:47], 0 offset:68 ; 4-byte Folded Reload
	buffer_load_dword v69, off, s[44:47], 0 offset:72 ; 4-byte Folded Reload
	buffer_load_dword v66, off, s[44:47], 0 offset:60 ; 4-byte Folded Reload
	buffer_load_dword v67, off, s[44:47], 0 offset:64 ; 4-byte Folded Reload
	buffer_load_dword v64, off, s[44:47], 0 offset:52 ; 4-byte Folded Reload
	buffer_load_dword v65, off, s[44:47], 0 offset:56 ; 4-byte Folded Reload
	buffer_load_dword v62, off, s[44:47], 0 offset:48 ; 4-byte Folded Reload
	buffer_load_dword v60, off, s[44:47], 0 offset:40 ; 4-byte Folded Reload
	buffer_load_dword v61, off, s[44:47], 0 offset:44 ; 4-byte Folded Reload
	buffer_load_dword v58, off, s[44:47], 0 offset:32 ; 4-byte Folded Reload
	buffer_load_dword v59, off, s[44:47], 0 offset:36 ; 4-byte Folded Reload
	buffer_load_dword v56, off, s[44:47], 0 offset:24 ; 4-byte Folded Reload
	buffer_load_dword v57, off, s[44:47], 0 offset:28 ; 4-byte Folded Reload
	buffer_load_dword v50, off, s[44:47], 0 offset:16 ; 4-byte Folded Reload
	buffer_load_dword v51, off, s[44:47], 0 offset:20 ; 4-byte Folded Reload
	;;#ASMSTART
	s_nop 0
	v_add_f32 v9, v9, v9 row_shr:8 bound_ctrl:0 
	;;#ASMEND
	s_waitcnt vmcnt(8)
	;;#ASMSTART
	s_nop 0
	v_add_f32 v62, v62, v62 row_shr:8 bound_ctrl:0 
	;;#ASMEND
	;;#ASMSTART
	s_nop 0
	v_add_f32 v41, v41, v41 row_shr:8 bound_ctrl:0 
	;;#ASMEND
	;; [unrolled: 4-line block ×20, first 2 shown]
	;;#ASMSTART
	s_nop 0
	v_add_f32 v9, v9, v9 wave_shr:1 bound_ctrl:0
	;;#ASMEND
	;;#ASMSTART
	s_nop 0
	v_add_f32 v62, v62, v62 wave_shr:1 bound_ctrl:0
	;;#ASMEND
	;; [unrolled: 4-line block ×7, first 2 shown]
	;;#ASMSTART
	s_nop 0
	v_add_f32 v9, v9, v9 row_bcast:15 bound_ctrl:0
	;;#ASMEND
	;;#ASMSTART
	s_nop 0
	v_add_f32 v62, v62, v62 row_bcast:15 bound_ctrl:0
	;;#ASMEND
	;; [unrolled: 4-line block ×14, first 2 shown]
	;;#ASMSTART
	s_nop 0
	v_add_f32 v69, v69, v69 row_shr:8 bound_ctrl:0 
	;;#ASMEND
	;;#ASMSTART
	s_nop 0
	v_add_f32 v68, v68, v68 row_shr:8 bound_ctrl:0 
	;;#ASMEND
	;;#ASMSTART
	s_nop 0
	v_add_f32 v67, v67, v67 row_shr:8 bound_ctrl:0 
	;;#ASMEND
	;;#ASMSTART
	s_nop 0
	v_add_f32 v66, v66, v66 row_shr:8 bound_ctrl:0 
	;;#ASMEND
	;;#ASMSTART
	s_nop 0
	v_add_f32 v65, v65, v65 row_shr:8 bound_ctrl:0 
	;;#ASMEND
	;;#ASMSTART
	s_nop 0
	v_add_f32 v64, v64, v64 row_shr:8 bound_ctrl:0 
	;;#ASMEND
	s_waitcnt vmcnt(6)
	;;#ASMSTART
	s_nop 0
	v_add_f32 v61, v61, v61 row_shr:8 bound_ctrl:0 
	;;#ASMEND
	;;#ASMSTART
	s_nop 0
	v_add_f32 v60, v60, v60 row_shr:8 bound_ctrl:0 
	;;#ASMEND
	s_waitcnt vmcnt(4)
	;;#ASMSTART
	s_nop 0
	v_add_f32 v59, v59, v59 row_shr:8 bound_ctrl:0 
	;;#ASMEND
	;;#ASMSTART
	s_nop 0
	v_add_f32 v58, v58, v58 row_shr:8 bound_ctrl:0 
	;;#ASMEND
	;; [unrolled: 9-line block ×4, first 2 shown]
	;;#ASMSTART
	s_nop 0
	v_add_f32 v69, v69, v69 row_shr:4 bound_ctrl:0 
	;;#ASMEND
	;;#ASMSTART
	s_nop 0
	v_add_f32 v68, v68, v68 row_shr:4 bound_ctrl:0 
	;;#ASMEND
	;; [unrolled: 4-line block ×28, first 2 shown]
	;;#ASMSTART
	s_nop 0
	v_add_f32 v69, v69, v69 wave_shr:1 bound_ctrl:0
	;;#ASMEND
	;;#ASMSTART
	s_nop 0
	v_add_f32 v68, v68, v68 wave_shr:1 bound_ctrl:0
	;;#ASMEND
	;; [unrolled: 4-line block ×14, first 2 shown]
	;;#ASMSTART
	s_nop 0
	v_add_f32 v69, v69, v69 row_bcast:15 bound_ctrl:0
	;;#ASMEND
	;;#ASMSTART
	s_nop 0
	v_add_f32 v68, v68, v68 row_bcast:15 bound_ctrl:0
	;;#ASMEND
	;; [unrolled: 4-line block ×28, first 2 shown]
	s_and_saveexec_b64 s[30:31], s[0:1]
	s_cbranch_execz .LBB27_168
; %bb.42:                               ;   in Loop: Header=BB27_16 Depth=1
	v_cmp_ne_u32_e32 vcc, 0, v2
	s_and_saveexec_b64 s[6:7], vcc
	s_cbranch_execnz .LBB27_49
; %bb.43:                               ;   in Loop: Header=BB27_16 Depth=1
	s_or_b64 exec, exec, s[6:7]
	v_cmp_ne_u32_e64 s[4:5], 0, v3
	s_and_saveexec_b64 s[8:9], s[4:5]
	s_cbranch_execnz .LBB27_54
.LBB27_44:                              ;   in Loop: Header=BB27_16 Depth=1
	s_or_b64 exec, exec, s[8:9]
	v_cmp_ne_u32_e64 s[6:7], 0, v4
	s_and_saveexec_b64 s[10:11], s[6:7]
	s_cbranch_execnz .LBB27_59
.LBB27_45:                              ;   in Loop: Header=BB27_16 Depth=1
	s_or_b64 exec, exec, s[10:11]
	v_cmp_ne_u32_e64 s[8:9], 0, v5
	s_and_saveexec_b64 s[12:13], s[8:9]
	s_cbranch_execnz .LBB27_64
.LBB27_46:                              ;   in Loop: Header=BB27_16 Depth=1
	s_or_b64 exec, exec, s[12:13]
	v_cmp_ne_u32_e64 s[10:11], 0, v6
	s_and_saveexec_b64 s[14:15], s[10:11]
	s_cbranch_execnz .LBB27_69
.LBB27_47:                              ;   in Loop: Header=BB27_16 Depth=1
	s_or_b64 exec, exec, s[14:15]
	v_cmp_ne_u32_e64 s[12:13], 0, v7
	s_and_saveexec_b64 s[16:17], s[12:13]
	s_cbranch_execnz .LBB27_74
.LBB27_48:                              ;   in Loop: Header=BB27_16 Depth=1
	s_or_b64 exec, exec, s[16:17]
	v_cmp_ne_u32_e64 s[14:15], 0, v8
	s_and_saveexec_b64 s[34:35], s[14:15]
	s_cbranch_execnz .LBB27_79
	s_branch .LBB27_84
.LBB27_49:                              ;   in Loop: Header=BB27_16 Depth=1
	v_and_b32_e32 v0, 0x7f800000, v9
	v_cmp_ne_u32_e64 s[4:5], s40, v0
                                        ; implicit-def: $vgpr0
	s_and_saveexec_b64 s[8:9], s[4:5]
	s_xor_b64 s[4:5], exec, s[8:9]
; %bb.50:                               ;   in Loop: Header=BB27_16 Depth=1
	v_bfe_u32 v0, v9, 16, 1
	v_add3_u32 v0, v9, v0, s39
                                        ; implicit-def: $vgpr9
; %bb.51:                               ;   in Loop: Header=BB27_16 Depth=1
	s_andn2_saveexec_b64 s[8:9], s[4:5]
; %bb.52:                               ;   in Loop: Header=BB27_16 Depth=1
	v_or_b32_e32 v0, 0x10000, v9
	v_cmp_eq_u32_sdwa s[4:5], v9, v1 src0_sel:WORD_0 src1_sel:DWORD
	v_cndmask_b32_e64 v0, v0, v9, s[4:5]
; %bb.53:                               ;   in Loop: Header=BB27_16 Depth=1
	s_or_b64 exec, exec, s[8:9]
	buffer_load_dword v38, off, s[44:47], 0 offset:104 ; 4-byte Folded Reload
	buffer_load_dword v39, off, s[44:47], 0 offset:108 ; 4-byte Folded Reload
	s_waitcnt vmcnt(0)
	v_mov_b32_e32 v39, v1
	s_waitcnt lgkmcnt(0)
	v_mov_b32_e32 v9, s25
	v_mov_b32_e32 v40, v38
	v_lshlrev_b64 v[38:39], 1, v[38:39]
	v_add_co_u32_e64 v38, s[4:5], s24, v38
	v_addc_co_u32_e64 v39, s[4:5], v9, v39, s[4:5]
	buffer_store_dword v40, off, s[44:47], 0 offset:104 ; 4-byte Folded Spill
	s_nop 0
	buffer_store_dword v41, off, s[44:47], 0 offset:108 ; 4-byte Folded Spill
	global_store_short_d16_hi v[38:39], v0, off
	s_or_b64 exec, exec, s[6:7]
	v_cmp_ne_u32_e64 s[4:5], 0, v3
	s_and_saveexec_b64 s[8:9], s[4:5]
	s_cbranch_execz .LBB27_44
.LBB27_54:                              ;   in Loop: Header=BB27_16 Depth=1
	v_and_b32_e32 v0, 0x7f800000, v69
	v_cmp_ne_u32_e64 s[6:7], s40, v0
                                        ; implicit-def: $vgpr9
	s_and_saveexec_b64 s[10:11], s[6:7]
	s_xor_b64 s[6:7], exec, s[10:11]
; %bb.55:                               ;   in Loop: Header=BB27_16 Depth=1
	v_pk_mov_b32 v[38:39], v[68:69], v[68:69] op_sel:[0,1]
	v_bfe_u32 v0, v39, 16, 1
	v_add3_u32 v9, v39, v0, s39
; %bb.56:                               ;   in Loop: Header=BB27_16 Depth=1
	s_andn2_saveexec_b64 s[10:11], s[6:7]
; %bb.57:                               ;   in Loop: Header=BB27_16 Depth=1
	v_pk_mov_b32 v[38:39], v[68:69], v[68:69] op_sel:[0,1]
	v_or_b32_e32 v0, 0x10000, v39
	v_cmp_eq_u32_sdwa s[6:7], v39, v1 src0_sel:WORD_0 src1_sel:DWORD
	v_cndmask_b32_e64 v9, v0, v39, s[6:7]
; %bb.58:                               ;   in Loop: Header=BB27_16 Depth=1
	s_or_b64 exec, exec, s[10:11]
	buffer_load_dword v38, off, s[44:47], 0 offset:104 ; 4-byte Folded Reload
	buffer_load_dword v39, off, s[44:47], 0 offset:108 ; 4-byte Folded Reload
	s_waitcnt vmcnt(1)
	v_add_u32_e32 v0, 1, v38
	s_waitcnt vmcnt(0)
	v_lshlrev_b64 v[38:39], 1, v[0:1]
	s_waitcnt lgkmcnt(0)
	v_mov_b32_e32 v0, s25
	v_add_co_u32_e64 v38, s[6:7], s24, v38
	v_addc_co_u32_e64 v39, s[6:7], v0, v39, s[6:7]
	global_store_short_d16_hi v[38:39], v9, off
	s_or_b64 exec, exec, s[8:9]
	v_cmp_ne_u32_e64 s[6:7], 0, v4
	s_and_saveexec_b64 s[10:11], s[6:7]
	s_cbranch_execz .LBB27_45
.LBB27_59:                              ;   in Loop: Header=BB27_16 Depth=1
	v_and_b32_e32 v0, 0x7f800000, v68
	v_cmp_ne_u32_e64 s[8:9], s40, v0
                                        ; implicit-def: $vgpr9
	s_and_saveexec_b64 s[12:13], s[8:9]
	s_xor_b64 s[8:9], exec, s[12:13]
; %bb.60:                               ;   in Loop: Header=BB27_16 Depth=1
	v_bfe_u32 v0, v68, 16, 1
	v_add3_u32 v9, v68, v0, s39
                                        ; implicit-def: $vgpr68
; %bb.61:                               ;   in Loop: Header=BB27_16 Depth=1
	s_andn2_saveexec_b64 s[12:13], s[8:9]
; %bb.62:                               ;   in Loop: Header=BB27_16 Depth=1
	v_or_b32_e32 v0, 0x10000, v68
	v_cmp_eq_u32_sdwa s[8:9], v68, v1 src0_sel:WORD_0 src1_sel:DWORD
	v_cndmask_b32_e64 v9, v0, v68, s[8:9]
; %bb.63:                               ;   in Loop: Header=BB27_16 Depth=1
	s_or_b64 exec, exec, s[12:13]
	buffer_load_dword v38, off, s[44:47], 0 offset:104 ; 4-byte Folded Reload
	buffer_load_dword v39, off, s[44:47], 0 offset:108 ; 4-byte Folded Reload
	s_waitcnt vmcnt(1)
	v_add_u32_e32 v0, 2, v38
	s_waitcnt vmcnt(0)
	v_lshlrev_b64 v[38:39], 1, v[0:1]
	s_waitcnt lgkmcnt(0)
	v_mov_b32_e32 v0, s25
	v_add_co_u32_e64 v38, s[8:9], s24, v38
	v_addc_co_u32_e64 v39, s[8:9], v0, v39, s[8:9]
	global_store_short_d16_hi v[38:39], v9, off
	s_or_b64 exec, exec, s[10:11]
	v_cmp_ne_u32_e64 s[8:9], 0, v5
	s_and_saveexec_b64 s[12:13], s[8:9]
	s_cbranch_execz .LBB27_46
.LBB27_64:                              ;   in Loop: Header=BB27_16 Depth=1
	v_and_b32_e32 v0, 0x7f800000, v67
	v_cmp_ne_u32_e64 s[10:11], s40, v0
                                        ; implicit-def: $vgpr9
	s_and_saveexec_b64 s[14:15], s[10:11]
	s_xor_b64 s[10:11], exec, s[14:15]
; %bb.65:                               ;   in Loop: Header=BB27_16 Depth=1
	v_pk_mov_b32 v[38:39], v[66:67], v[66:67] op_sel:[0,1]
	v_bfe_u32 v0, v39, 16, 1
	v_add3_u32 v9, v39, v0, s39
; %bb.66:                               ;   in Loop: Header=BB27_16 Depth=1
	s_andn2_saveexec_b64 s[14:15], s[10:11]
; %bb.67:                               ;   in Loop: Header=BB27_16 Depth=1
	v_pk_mov_b32 v[38:39], v[66:67], v[66:67] op_sel:[0,1]
	v_or_b32_e32 v0, 0x10000, v39
	v_cmp_eq_u32_sdwa s[10:11], v39, v1 src0_sel:WORD_0 src1_sel:DWORD
	v_cndmask_b32_e64 v9, v0, v39, s[10:11]
; %bb.68:                               ;   in Loop: Header=BB27_16 Depth=1
	s_or_b64 exec, exec, s[14:15]
	buffer_load_dword v38, off, s[44:47], 0 offset:104 ; 4-byte Folded Reload
	buffer_load_dword v39, off, s[44:47], 0 offset:108 ; 4-byte Folded Reload
	s_waitcnt vmcnt(1)
	v_add_u32_e32 v0, 3, v38
	s_waitcnt vmcnt(0)
	v_lshlrev_b64 v[38:39], 1, v[0:1]
	s_waitcnt lgkmcnt(0)
	v_mov_b32_e32 v0, s25
	v_add_co_u32_e64 v38, s[10:11], s24, v38
	v_addc_co_u32_e64 v39, s[10:11], v0, v39, s[10:11]
	global_store_short_d16_hi v[38:39], v9, off
	s_or_b64 exec, exec, s[12:13]
	v_cmp_ne_u32_e64 s[10:11], 0, v6
	s_and_saveexec_b64 s[14:15], s[10:11]
	s_cbranch_execz .LBB27_47
.LBB27_69:                              ;   in Loop: Header=BB27_16 Depth=1
	v_and_b32_e32 v0, 0x7f800000, v66
	v_cmp_ne_u32_e64 s[12:13], s40, v0
                                        ; implicit-def: $vgpr9
	s_and_saveexec_b64 s[16:17], s[12:13]
	s_xor_b64 s[12:13], exec, s[16:17]
; %bb.70:                               ;   in Loop: Header=BB27_16 Depth=1
	v_bfe_u32 v0, v66, 16, 1
	v_add3_u32 v9, v66, v0, s39
                                        ; implicit-def: $vgpr66
; %bb.71:                               ;   in Loop: Header=BB27_16 Depth=1
	s_andn2_saveexec_b64 s[16:17], s[12:13]
; %bb.72:                               ;   in Loop: Header=BB27_16 Depth=1
	v_or_b32_e32 v0, 0x10000, v66
	v_cmp_eq_u32_sdwa s[12:13], v66, v1 src0_sel:WORD_0 src1_sel:DWORD
	v_cndmask_b32_e64 v9, v0, v66, s[12:13]
; %bb.73:                               ;   in Loop: Header=BB27_16 Depth=1
	s_or_b64 exec, exec, s[16:17]
	buffer_load_dword v38, off, s[44:47], 0 offset:104 ; 4-byte Folded Reload
	buffer_load_dword v39, off, s[44:47], 0 offset:108 ; 4-byte Folded Reload
	s_waitcnt vmcnt(1)
	v_add_u32_e32 v0, 4, v38
	s_waitcnt vmcnt(0)
	v_lshlrev_b64 v[38:39], 1, v[0:1]
	s_waitcnt lgkmcnt(0)
	v_mov_b32_e32 v0, s25
	v_add_co_u32_e64 v38, s[12:13], s24, v38
	v_addc_co_u32_e64 v39, s[12:13], v0, v39, s[12:13]
	global_store_short_d16_hi v[38:39], v9, off
	s_or_b64 exec, exec, s[14:15]
	v_cmp_ne_u32_e64 s[12:13], 0, v7
	s_and_saveexec_b64 s[16:17], s[12:13]
	s_cbranch_execz .LBB27_48
.LBB27_74:                              ;   in Loop: Header=BB27_16 Depth=1
	v_and_b32_e32 v0, 0x7f800000, v65
	v_cmp_ne_u32_e64 s[14:15], s40, v0
                                        ; implicit-def: $vgpr9
	s_and_saveexec_b64 s[34:35], s[14:15]
	s_xor_b64 s[14:15], exec, s[34:35]
; %bb.75:                               ;   in Loop: Header=BB27_16 Depth=1
	v_pk_mov_b32 v[38:39], v[64:65], v[64:65] op_sel:[0,1]
	v_bfe_u32 v0, v39, 16, 1
	v_add3_u32 v9, v39, v0, s39
; %bb.76:                               ;   in Loop: Header=BB27_16 Depth=1
	s_andn2_saveexec_b64 s[34:35], s[14:15]
; %bb.77:                               ;   in Loop: Header=BB27_16 Depth=1
	v_pk_mov_b32 v[38:39], v[64:65], v[64:65] op_sel:[0,1]
	v_or_b32_e32 v0, 0x10000, v39
	v_cmp_eq_u32_sdwa s[14:15], v39, v1 src0_sel:WORD_0 src1_sel:DWORD
	v_cndmask_b32_e64 v9, v0, v39, s[14:15]
; %bb.78:                               ;   in Loop: Header=BB27_16 Depth=1
	s_or_b64 exec, exec, s[34:35]
	buffer_load_dword v38, off, s[44:47], 0 offset:104 ; 4-byte Folded Reload
	buffer_load_dword v39, off, s[44:47], 0 offset:108 ; 4-byte Folded Reload
	s_waitcnt vmcnt(1)
	v_add_u32_e32 v0, 5, v38
	s_waitcnt vmcnt(0)
	v_lshlrev_b64 v[38:39], 1, v[0:1]
	s_waitcnt lgkmcnt(0)
	v_mov_b32_e32 v0, s25
	v_add_co_u32_e64 v38, s[14:15], s24, v38
	v_addc_co_u32_e64 v39, s[14:15], v0, v39, s[14:15]
	global_store_short_d16_hi v[38:39], v9, off
	s_or_b64 exec, exec, s[16:17]
	v_cmp_ne_u32_e64 s[14:15], 0, v8
	s_and_saveexec_b64 s[34:35], s[14:15]
	s_cbranch_execz .LBB27_84
.LBB27_79:                              ;   in Loop: Header=BB27_16 Depth=1
	v_and_b32_e32 v0, 0x7f800000, v64
	v_cmp_ne_u32_e64 s[16:17], s40, v0
                                        ; implicit-def: $vgpr9
	s_and_saveexec_b64 s[36:37], s[16:17]
	s_xor_b64 s[16:17], exec, s[36:37]
; %bb.80:                               ;   in Loop: Header=BB27_16 Depth=1
	v_bfe_u32 v0, v64, 16, 1
	v_add3_u32 v9, v64, v0, s39
                                        ; implicit-def: $vgpr64
; %bb.81:                               ;   in Loop: Header=BB27_16 Depth=1
	s_andn2_saveexec_b64 s[36:37], s[16:17]
; %bb.82:                               ;   in Loop: Header=BB27_16 Depth=1
	v_or_b32_e32 v0, 0x10000, v64
	v_cmp_eq_u32_sdwa s[16:17], v64, v1 src0_sel:WORD_0 src1_sel:DWORD
	v_cndmask_b32_e64 v9, v0, v64, s[16:17]
; %bb.83:                               ;   in Loop: Header=BB27_16 Depth=1
	s_or_b64 exec, exec, s[36:37]
	buffer_load_dword v38, off, s[44:47], 0 offset:104 ; 4-byte Folded Reload
	buffer_load_dword v39, off, s[44:47], 0 offset:108 ; 4-byte Folded Reload
	s_waitcnt vmcnt(1)
	v_add_u32_e32 v0, 6, v38
	s_waitcnt vmcnt(0)
	v_lshlrev_b64 v[38:39], 1, v[0:1]
	s_waitcnt lgkmcnt(0)
	v_mov_b32_e32 v0, s25
	v_add_co_u32_e64 v38, s[16:17], s24, v38
	v_addc_co_u32_e64 v39, s[16:17], v0, v39, s[16:17]
	global_store_short_d16_hi v[38:39], v9, off
.LBB27_84:                              ;   in Loop: Header=BB27_16 Depth=1
	s_or_b64 exec, exec, s[34:35]
	buffer_load_dword v38, off, s[44:47], 0 offset:104 ; 4-byte Folded Reload
	buffer_load_dword v39, off, s[44:47], 0 offset:108 ; 4-byte Folded Reload
	s_waitcnt vmcnt(1)
	v_add_u32_e32 v0, s19, v38
	s_and_saveexec_b64 s[34:35], vcc
	s_cbranch_execnz .LBB27_98
; %bb.85:                               ;   in Loop: Header=BB27_16 Depth=1
	s_or_b64 exec, exec, s[34:35]
	s_and_saveexec_b64 s[34:35], s[4:5]
	s_cbranch_execnz .LBB27_103
.LBB27_86:                              ;   in Loop: Header=BB27_16 Depth=1
	s_or_b64 exec, exec, s[34:35]
	s_and_saveexec_b64 s[34:35], s[6:7]
	s_cbranch_execnz .LBB27_108
.LBB27_87:                              ;   in Loop: Header=BB27_16 Depth=1
	s_or_b64 exec, exec, s[34:35]
	s_and_saveexec_b64 s[34:35], s[8:9]
	s_cbranch_execnz .LBB27_113
.LBB27_88:                              ;   in Loop: Header=BB27_16 Depth=1
	s_or_b64 exec, exec, s[34:35]
	s_and_saveexec_b64 s[34:35], s[10:11]
	s_cbranch_execnz .LBB27_118
.LBB27_89:                              ;   in Loop: Header=BB27_16 Depth=1
	s_or_b64 exec, exec, s[34:35]
	s_and_saveexec_b64 s[34:35], s[12:13]
	s_cbranch_execnz .LBB27_123
.LBB27_90:                              ;   in Loop: Header=BB27_16 Depth=1
	s_or_b64 exec, exec, s[34:35]
	s_and_saveexec_b64 s[34:35], s[14:15]
	s_cbranch_execnz .LBB27_128
.LBB27_91:                              ;   in Loop: Header=BB27_16 Depth=1
	s_or_b64 exec, exec, s[34:35]
	v_add_u32_e32 v0, s19, v0
	s_and_saveexec_b64 s[16:17], vcc
	s_cbranch_execnz .LBB27_133
.LBB27_92:                              ;   in Loop: Header=BB27_16 Depth=1
	s_or_b64 exec, exec, s[16:17]
	s_and_saveexec_b64 s[16:17], s[4:5]
	s_cbranch_execnz .LBB27_138
.LBB27_93:                              ;   in Loop: Header=BB27_16 Depth=1
	s_or_b64 exec, exec, s[16:17]
	s_and_saveexec_b64 s[4:5], s[6:7]
	s_cbranch_execnz .LBB27_143
.LBB27_94:                              ;   in Loop: Header=BB27_16 Depth=1
	s_or_b64 exec, exec, s[4:5]
	s_and_saveexec_b64 s[4:5], s[8:9]
	s_cbranch_execnz .LBB27_148
.LBB27_95:                              ;   in Loop: Header=BB27_16 Depth=1
	s_or_b64 exec, exec, s[4:5]
	s_and_saveexec_b64 s[4:5], s[10:11]
	s_cbranch_execnz .LBB27_153
.LBB27_96:                              ;   in Loop: Header=BB27_16 Depth=1
	s_or_b64 exec, exec, s[4:5]
	s_and_saveexec_b64 s[4:5], s[12:13]
	s_cbranch_execnz .LBB27_158
.LBB27_97:                              ;   in Loop: Header=BB27_16 Depth=1
	s_or_b64 exec, exec, s[4:5]
	s_and_b64 exec, exec, s[14:15]
	s_cbranch_execnz .LBB27_163
	s_branch .LBB27_168
.LBB27_98:                              ;   in Loop: Header=BB27_16 Depth=1
	v_and_b32_e32 v9, 0x7f800000, v62
	v_cmp_ne_u32_e64 s[16:17], s40, v9
                                        ; implicit-def: $vgpr9
	s_and_saveexec_b64 s[36:37], s[16:17]
	s_xor_b64 s[16:17], exec, s[36:37]
; %bb.99:                               ;   in Loop: Header=BB27_16 Depth=1
	v_bfe_u32 v9, v62, 16, 1
	v_add3_u32 v9, v62, v9, s39
                                        ; implicit-def: $vgpr62
; %bb.100:                              ;   in Loop: Header=BB27_16 Depth=1
	s_andn2_saveexec_b64 s[36:37], s[16:17]
; %bb.101:                              ;   in Loop: Header=BB27_16 Depth=1
	v_or_b32_e32 v9, 0x10000, v62
	v_cmp_eq_u32_sdwa s[16:17], v62, v1 src0_sel:WORD_0 src1_sel:DWORD
	v_cndmask_b32_e64 v9, v9, v62, s[16:17]
; %bb.102:                              ;   in Loop: Header=BB27_16 Depth=1
	s_or_b64 exec, exec, s[36:37]
	s_waitcnt vmcnt(0)
	v_lshlrev_b64 v[38:39], 1, v[0:1]
	s_waitcnt lgkmcnt(0)
	v_mov_b32_e32 v40, s25
	v_add_co_u32_e64 v38, s[16:17], s24, v38
	v_addc_co_u32_e64 v39, s[16:17], v40, v39, s[16:17]
	global_store_short_d16_hi v[38:39], v9, off
	s_or_b64 exec, exec, s[34:35]
	s_and_saveexec_b64 s[34:35], s[4:5]
	s_cbranch_execz .LBB27_86
.LBB27_103:                             ;   in Loop: Header=BB27_16 Depth=1
	v_and_b32_e32 v9, 0x7f800000, v61
	v_cmp_ne_u32_e64 s[16:17], s40, v9
                                        ; implicit-def: $vgpr9
	s_and_saveexec_b64 s[36:37], s[16:17]
	s_xor_b64 s[16:17], exec, s[36:37]
	s_cbranch_execz .LBB27_105
; %bb.104:                              ;   in Loop: Header=BB27_16 Depth=1
	s_waitcnt vmcnt(0)
	v_pk_mov_b32 v[38:39], v[60:61], v[60:61] op_sel:[0,1]
	v_bfe_u32 v9, v39, 16, 1
	v_add3_u32 v9, v39, v9, s39
.LBB27_105:                             ;   in Loop: Header=BB27_16 Depth=1
	s_andn2_saveexec_b64 s[36:37], s[16:17]
	s_cbranch_execz .LBB27_107
; %bb.106:                              ;   in Loop: Header=BB27_16 Depth=1
	s_waitcnt vmcnt(0)
	v_pk_mov_b32 v[38:39], v[60:61], v[60:61] op_sel:[0,1]
	v_or_b32_e32 v9, 0x10000, v39
	v_cmp_eq_u32_sdwa s[16:17], v39, v1 src0_sel:WORD_0 src1_sel:DWORD
	v_cndmask_b32_e64 v9, v9, v39, s[16:17]
.LBB27_107:                             ;   in Loop: Header=BB27_16 Depth=1
	s_or_b64 exec, exec, s[36:37]
	v_add_u32_e32 v38, 1, v0
	s_waitcnt vmcnt(0)
	v_mov_b32_e32 v39, v1
	v_lshlrev_b64 v[38:39], 1, v[38:39]
	s_waitcnt lgkmcnt(0)
	v_mov_b32_e32 v40, s25
	v_add_co_u32_e64 v38, s[16:17], s24, v38
	v_addc_co_u32_e64 v39, s[16:17], v40, v39, s[16:17]
	global_store_short_d16_hi v[38:39], v9, off
	s_or_b64 exec, exec, s[34:35]
	s_and_saveexec_b64 s[34:35], s[6:7]
	s_cbranch_execz .LBB27_87
.LBB27_108:                             ;   in Loop: Header=BB27_16 Depth=1
	v_and_b32_e32 v9, 0x7f800000, v60
	v_cmp_ne_u32_e64 s[16:17], s40, v9
                                        ; implicit-def: $vgpr9
	s_and_saveexec_b64 s[36:37], s[16:17]
	s_xor_b64 s[16:17], exec, s[36:37]
; %bb.109:                              ;   in Loop: Header=BB27_16 Depth=1
	v_bfe_u32 v9, v60, 16, 1
	v_add3_u32 v9, v60, v9, s39
                                        ; implicit-def: $vgpr60
; %bb.110:                              ;   in Loop: Header=BB27_16 Depth=1
	s_andn2_saveexec_b64 s[36:37], s[16:17]
; %bb.111:                              ;   in Loop: Header=BB27_16 Depth=1
	v_or_b32_e32 v9, 0x10000, v60
	v_cmp_eq_u32_sdwa s[16:17], v60, v1 src0_sel:WORD_0 src1_sel:DWORD
	v_cndmask_b32_e64 v9, v9, v60, s[16:17]
; %bb.112:                              ;   in Loop: Header=BB27_16 Depth=1
	s_or_b64 exec, exec, s[36:37]
	v_add_u32_e32 v38, 2, v0
	s_waitcnt vmcnt(0)
	v_mov_b32_e32 v39, v1
	v_lshlrev_b64 v[38:39], 1, v[38:39]
	s_waitcnt lgkmcnt(0)
	v_mov_b32_e32 v40, s25
	v_add_co_u32_e64 v38, s[16:17], s24, v38
	v_addc_co_u32_e64 v39, s[16:17], v40, v39, s[16:17]
	global_store_short_d16_hi v[38:39], v9, off
	s_or_b64 exec, exec, s[34:35]
	s_and_saveexec_b64 s[34:35], s[8:9]
	s_cbranch_execz .LBB27_88
.LBB27_113:                             ;   in Loop: Header=BB27_16 Depth=1
	v_and_b32_e32 v9, 0x7f800000, v59
	v_cmp_ne_u32_e64 s[16:17], s40, v9
                                        ; implicit-def: $vgpr9
	s_and_saveexec_b64 s[36:37], s[16:17]
	s_xor_b64 s[16:17], exec, s[36:37]
	s_cbranch_execz .LBB27_115
; %bb.114:                              ;   in Loop: Header=BB27_16 Depth=1
	s_waitcnt vmcnt(0)
	v_pk_mov_b32 v[38:39], v[58:59], v[58:59] op_sel:[0,1]
	v_bfe_u32 v9, v39, 16, 1
	v_add3_u32 v9, v39, v9, s39
.LBB27_115:                             ;   in Loop: Header=BB27_16 Depth=1
	s_andn2_saveexec_b64 s[36:37], s[16:17]
	s_cbranch_execz .LBB27_117
; %bb.116:                              ;   in Loop: Header=BB27_16 Depth=1
	s_waitcnt vmcnt(0)
	v_pk_mov_b32 v[38:39], v[58:59], v[58:59] op_sel:[0,1]
	v_or_b32_e32 v9, 0x10000, v39
	v_cmp_eq_u32_sdwa s[16:17], v39, v1 src0_sel:WORD_0 src1_sel:DWORD
	v_cndmask_b32_e64 v9, v9, v39, s[16:17]
.LBB27_117:                             ;   in Loop: Header=BB27_16 Depth=1
	s_or_b64 exec, exec, s[36:37]
	v_add_u32_e32 v38, 3, v0
	s_waitcnt vmcnt(0)
	v_mov_b32_e32 v39, v1
	v_lshlrev_b64 v[38:39], 1, v[38:39]
	s_waitcnt lgkmcnt(0)
	v_mov_b32_e32 v40, s25
	v_add_co_u32_e64 v38, s[16:17], s24, v38
	v_addc_co_u32_e64 v39, s[16:17], v40, v39, s[16:17]
	global_store_short_d16_hi v[38:39], v9, off
	s_or_b64 exec, exec, s[34:35]
	s_and_saveexec_b64 s[34:35], s[10:11]
	s_cbranch_execz .LBB27_89
.LBB27_118:                             ;   in Loop: Header=BB27_16 Depth=1
	v_and_b32_e32 v9, 0x7f800000, v58
	v_cmp_ne_u32_e64 s[16:17], s40, v9
                                        ; implicit-def: $vgpr9
	s_and_saveexec_b64 s[36:37], s[16:17]
	s_xor_b64 s[16:17], exec, s[36:37]
; %bb.119:                              ;   in Loop: Header=BB27_16 Depth=1
	v_bfe_u32 v9, v58, 16, 1
	v_add3_u32 v9, v58, v9, s39
                                        ; implicit-def: $vgpr58
; %bb.120:                              ;   in Loop: Header=BB27_16 Depth=1
	s_andn2_saveexec_b64 s[36:37], s[16:17]
; %bb.121:                              ;   in Loop: Header=BB27_16 Depth=1
	v_or_b32_e32 v9, 0x10000, v58
	v_cmp_eq_u32_sdwa s[16:17], v58, v1 src0_sel:WORD_0 src1_sel:DWORD
	v_cndmask_b32_e64 v9, v9, v58, s[16:17]
; %bb.122:                              ;   in Loop: Header=BB27_16 Depth=1
	s_or_b64 exec, exec, s[36:37]
	v_add_u32_e32 v38, 4, v0
	s_waitcnt vmcnt(0)
	v_mov_b32_e32 v39, v1
	v_lshlrev_b64 v[38:39], 1, v[38:39]
	s_waitcnt lgkmcnt(0)
	v_mov_b32_e32 v40, s25
	v_add_co_u32_e64 v38, s[16:17], s24, v38
	v_addc_co_u32_e64 v39, s[16:17], v40, v39, s[16:17]
	global_store_short_d16_hi v[38:39], v9, off
	s_or_b64 exec, exec, s[34:35]
	s_and_saveexec_b64 s[34:35], s[12:13]
	s_cbranch_execz .LBB27_90
.LBB27_123:                             ;   in Loop: Header=BB27_16 Depth=1
	v_and_b32_e32 v9, 0x7f800000, v57
	v_cmp_ne_u32_e64 s[16:17], s40, v9
                                        ; implicit-def: $vgpr9
	s_and_saveexec_b64 s[36:37], s[16:17]
	s_xor_b64 s[16:17], exec, s[36:37]
	s_cbranch_execz .LBB27_125
; %bb.124:                              ;   in Loop: Header=BB27_16 Depth=1
	s_waitcnt vmcnt(0)
	v_pk_mov_b32 v[38:39], v[56:57], v[56:57] op_sel:[0,1]
	v_bfe_u32 v9, v39, 16, 1
	v_add3_u32 v9, v39, v9, s39
.LBB27_125:                             ;   in Loop: Header=BB27_16 Depth=1
	s_andn2_saveexec_b64 s[36:37], s[16:17]
	s_cbranch_execz .LBB27_127
; %bb.126:                              ;   in Loop: Header=BB27_16 Depth=1
	s_waitcnt vmcnt(0)
	v_pk_mov_b32 v[38:39], v[56:57], v[56:57] op_sel:[0,1]
	v_or_b32_e32 v9, 0x10000, v39
	v_cmp_eq_u32_sdwa s[16:17], v39, v1 src0_sel:WORD_0 src1_sel:DWORD
	v_cndmask_b32_e64 v9, v9, v39, s[16:17]
.LBB27_127:                             ;   in Loop: Header=BB27_16 Depth=1
	s_or_b64 exec, exec, s[36:37]
	v_add_u32_e32 v38, 5, v0
	s_waitcnt vmcnt(0)
	v_mov_b32_e32 v39, v1
	v_lshlrev_b64 v[38:39], 1, v[38:39]
	s_waitcnt lgkmcnt(0)
	v_mov_b32_e32 v40, s25
	v_add_co_u32_e64 v38, s[16:17], s24, v38
	v_addc_co_u32_e64 v39, s[16:17], v40, v39, s[16:17]
	global_store_short_d16_hi v[38:39], v9, off
	s_or_b64 exec, exec, s[34:35]
	s_and_saveexec_b64 s[34:35], s[14:15]
	s_cbranch_execz .LBB27_91
.LBB27_128:                             ;   in Loop: Header=BB27_16 Depth=1
	v_and_b32_e32 v9, 0x7f800000, v56
	v_cmp_ne_u32_e64 s[16:17], s40, v9
                                        ; implicit-def: $vgpr9
	s_and_saveexec_b64 s[36:37], s[16:17]
	s_xor_b64 s[16:17], exec, s[36:37]
; %bb.129:                              ;   in Loop: Header=BB27_16 Depth=1
	v_bfe_u32 v9, v56, 16, 1
	v_add3_u32 v9, v56, v9, s39
                                        ; implicit-def: $vgpr56
; %bb.130:                              ;   in Loop: Header=BB27_16 Depth=1
	s_andn2_saveexec_b64 s[36:37], s[16:17]
; %bb.131:                              ;   in Loop: Header=BB27_16 Depth=1
	v_or_b32_e32 v9, 0x10000, v56
	v_cmp_eq_u32_sdwa s[16:17], v56, v1 src0_sel:WORD_0 src1_sel:DWORD
	v_cndmask_b32_e64 v9, v9, v56, s[16:17]
; %bb.132:                              ;   in Loop: Header=BB27_16 Depth=1
	s_or_b64 exec, exec, s[36:37]
	v_add_u32_e32 v38, 6, v0
	s_waitcnt vmcnt(0)
	v_mov_b32_e32 v39, v1
	v_lshlrev_b64 v[38:39], 1, v[38:39]
	s_waitcnt lgkmcnt(0)
	v_mov_b32_e32 v40, s25
	v_add_co_u32_e64 v38, s[16:17], s24, v38
	v_addc_co_u32_e64 v39, s[16:17], v40, v39, s[16:17]
	global_store_short_d16_hi v[38:39], v9, off
	s_or_b64 exec, exec, s[34:35]
	v_add_u32_e32 v0, s19, v0
	s_and_saveexec_b64 s[16:17], vcc
	s_cbranch_execz .LBB27_92
.LBB27_133:                             ;   in Loop: Header=BB27_16 Depth=1
	v_and_b32_e32 v9, 0x7f800000, v41
	v_cmp_ne_u32_e32 vcc, s40, v9
                                        ; implicit-def: $vgpr9
	s_and_saveexec_b64 s[34:35], vcc
	s_xor_b64 s[34:35], exec, s[34:35]
; %bb.134:                              ;   in Loop: Header=BB27_16 Depth=1
	v_bfe_u32 v9, v41, 16, 1
	v_add3_u32 v9, v41, v9, s39
                                        ; implicit-def: $vgpr41
; %bb.135:                              ;   in Loop: Header=BB27_16 Depth=1
	s_andn2_saveexec_b64 s[34:35], s[34:35]
; %bb.136:                              ;   in Loop: Header=BB27_16 Depth=1
	v_or_b32_e32 v9, 0x10000, v41
	v_cmp_eq_u32_sdwa vcc, v41, v1 src0_sel:WORD_0 src1_sel:DWORD
	v_cndmask_b32_e32 v9, v9, v41, vcc
; %bb.137:                              ;   in Loop: Header=BB27_16 Depth=1
	s_or_b64 exec, exec, s[34:35]
	s_waitcnt vmcnt(0)
	v_lshlrev_b64 v[38:39], 1, v[0:1]
	s_waitcnt lgkmcnt(0)
	v_mov_b32_e32 v40, s25
	v_add_co_u32_e32 v38, vcc, s24, v38
	v_addc_co_u32_e32 v39, vcc, v40, v39, vcc
	global_store_short_d16_hi v[38:39], v9, off
	s_or_b64 exec, exec, s[16:17]
	s_and_saveexec_b64 s[16:17], s[4:5]
	s_cbranch_execz .LBB27_93
.LBB27_138:                             ;   in Loop: Header=BB27_16 Depth=1
	v_and_b32_e32 v9, 0x7f800000, v55
	v_cmp_ne_u32_e32 vcc, s40, v9
                                        ; implicit-def: $vgpr9
	s_and_saveexec_b64 s[4:5], vcc
	s_xor_b64 s[4:5], exec, s[4:5]
	s_cbranch_execz .LBB27_140
; %bb.139:                              ;   in Loop: Header=BB27_16 Depth=1
	s_waitcnt vmcnt(0)
	v_pk_mov_b32 v[38:39], v[54:55], v[54:55] op_sel:[0,1]
	v_bfe_u32 v9, v39, 16, 1
	v_add3_u32 v9, v39, v9, s39
.LBB27_140:                             ;   in Loop: Header=BB27_16 Depth=1
	s_andn2_saveexec_b64 s[4:5], s[4:5]
	s_cbranch_execz .LBB27_142
; %bb.141:                              ;   in Loop: Header=BB27_16 Depth=1
	s_waitcnt vmcnt(0)
	v_pk_mov_b32 v[38:39], v[54:55], v[54:55] op_sel:[0,1]
	v_or_b32_e32 v9, 0x10000, v39
	v_cmp_eq_u32_sdwa vcc, v39, v1 src0_sel:WORD_0 src1_sel:DWORD
	v_cndmask_b32_e32 v9, v9, v39, vcc
.LBB27_142:                             ;   in Loop: Header=BB27_16 Depth=1
	s_or_b64 exec, exec, s[4:5]
	v_add_u32_e32 v38, 1, v0
	s_waitcnt vmcnt(0)
	v_mov_b32_e32 v39, v1
	v_lshlrev_b64 v[38:39], 1, v[38:39]
	s_waitcnt lgkmcnt(0)
	v_mov_b32_e32 v40, s25
	v_add_co_u32_e32 v38, vcc, s24, v38
	v_addc_co_u32_e32 v39, vcc, v40, v39, vcc
	global_store_short_d16_hi v[38:39], v9, off
	s_or_b64 exec, exec, s[16:17]
	s_and_saveexec_b64 s[4:5], s[6:7]
	s_cbranch_execz .LBB27_94
.LBB27_143:                             ;   in Loop: Header=BB27_16 Depth=1
	v_and_b32_e32 v9, 0x7f800000, v54
	v_cmp_ne_u32_e32 vcc, s40, v9
                                        ; implicit-def: $vgpr9
	s_and_saveexec_b64 s[6:7], vcc
	s_xor_b64 s[6:7], exec, s[6:7]
; %bb.144:                              ;   in Loop: Header=BB27_16 Depth=1
	v_bfe_u32 v9, v54, 16, 1
	v_add3_u32 v9, v54, v9, s39
                                        ; implicit-def: $vgpr54
; %bb.145:                              ;   in Loop: Header=BB27_16 Depth=1
	s_andn2_saveexec_b64 s[6:7], s[6:7]
; %bb.146:                              ;   in Loop: Header=BB27_16 Depth=1
	v_or_b32_e32 v9, 0x10000, v54
	v_cmp_eq_u32_sdwa vcc, v54, v1 src0_sel:WORD_0 src1_sel:DWORD
	v_cndmask_b32_e32 v9, v9, v54, vcc
; %bb.147:                              ;   in Loop: Header=BB27_16 Depth=1
	s_or_b64 exec, exec, s[6:7]
	v_add_u32_e32 v38, 2, v0
	s_waitcnt vmcnt(0)
	v_mov_b32_e32 v39, v1
	v_lshlrev_b64 v[38:39], 1, v[38:39]
	s_waitcnt lgkmcnt(0)
	v_mov_b32_e32 v40, s25
	v_add_co_u32_e32 v38, vcc, s24, v38
	v_addc_co_u32_e32 v39, vcc, v40, v39, vcc
	global_store_short_d16_hi v[38:39], v9, off
	s_or_b64 exec, exec, s[4:5]
	s_and_saveexec_b64 s[4:5], s[8:9]
	s_cbranch_execz .LBB27_95
.LBB27_148:                             ;   in Loop: Header=BB27_16 Depth=1
	v_and_b32_e32 v9, 0x7f800000, v53
	v_cmp_ne_u32_e32 vcc, s40, v9
                                        ; implicit-def: $vgpr9
	s_and_saveexec_b64 s[6:7], vcc
	s_xor_b64 s[6:7], exec, s[6:7]
	s_cbranch_execz .LBB27_150
; %bb.149:                              ;   in Loop: Header=BB27_16 Depth=1
	s_waitcnt vmcnt(0)
	v_pk_mov_b32 v[38:39], v[52:53], v[52:53] op_sel:[0,1]
	v_bfe_u32 v9, v39, 16, 1
	v_add3_u32 v9, v39, v9, s39
.LBB27_150:                             ;   in Loop: Header=BB27_16 Depth=1
	s_andn2_saveexec_b64 s[6:7], s[6:7]
	s_cbranch_execz .LBB27_152
; %bb.151:                              ;   in Loop: Header=BB27_16 Depth=1
	s_waitcnt vmcnt(0)
	v_pk_mov_b32 v[38:39], v[52:53], v[52:53] op_sel:[0,1]
	v_or_b32_e32 v9, 0x10000, v39
	v_cmp_eq_u32_sdwa vcc, v39, v1 src0_sel:WORD_0 src1_sel:DWORD
	v_cndmask_b32_e32 v9, v9, v39, vcc
.LBB27_152:                             ;   in Loop: Header=BB27_16 Depth=1
	s_or_b64 exec, exec, s[6:7]
	v_add_u32_e32 v38, 3, v0
	s_waitcnt vmcnt(0)
	v_mov_b32_e32 v39, v1
	v_lshlrev_b64 v[38:39], 1, v[38:39]
	s_waitcnt lgkmcnt(0)
	v_mov_b32_e32 v40, s25
	v_add_co_u32_e32 v38, vcc, s24, v38
	v_addc_co_u32_e32 v39, vcc, v40, v39, vcc
	global_store_short_d16_hi v[38:39], v9, off
	s_or_b64 exec, exec, s[4:5]
	s_and_saveexec_b64 s[4:5], s[10:11]
	s_cbranch_execz .LBB27_96
.LBB27_153:                             ;   in Loop: Header=BB27_16 Depth=1
	v_and_b32_e32 v9, 0x7f800000, v52
	v_cmp_ne_u32_e32 vcc, s40, v9
                                        ; implicit-def: $vgpr9
	s_and_saveexec_b64 s[6:7], vcc
	s_xor_b64 s[6:7], exec, s[6:7]
; %bb.154:                              ;   in Loop: Header=BB27_16 Depth=1
	v_bfe_u32 v9, v52, 16, 1
	v_add3_u32 v9, v52, v9, s39
                                        ; implicit-def: $vgpr52
; %bb.155:                              ;   in Loop: Header=BB27_16 Depth=1
	s_andn2_saveexec_b64 s[6:7], s[6:7]
; %bb.156:                              ;   in Loop: Header=BB27_16 Depth=1
	v_or_b32_e32 v9, 0x10000, v52
	v_cmp_eq_u32_sdwa vcc, v52, v1 src0_sel:WORD_0 src1_sel:DWORD
	v_cndmask_b32_e32 v9, v9, v52, vcc
; %bb.157:                              ;   in Loop: Header=BB27_16 Depth=1
	s_or_b64 exec, exec, s[6:7]
	v_add_u32_e32 v38, 4, v0
	s_waitcnt vmcnt(0)
	v_mov_b32_e32 v39, v1
	v_lshlrev_b64 v[38:39], 1, v[38:39]
	s_waitcnt lgkmcnt(0)
	v_mov_b32_e32 v40, s25
	v_add_co_u32_e32 v38, vcc, s24, v38
	v_addc_co_u32_e32 v39, vcc, v40, v39, vcc
	global_store_short_d16_hi v[38:39], v9, off
	s_or_b64 exec, exec, s[4:5]
	s_and_saveexec_b64 s[4:5], s[12:13]
	s_cbranch_execz .LBB27_97
.LBB27_158:                             ;   in Loop: Header=BB27_16 Depth=1
	v_and_b32_e32 v9, 0x7f800000, v51
	v_cmp_ne_u32_e32 vcc, s40, v9
                                        ; implicit-def: $vgpr9
	s_and_saveexec_b64 s[6:7], vcc
	s_xor_b64 s[6:7], exec, s[6:7]
	s_cbranch_execz .LBB27_160
; %bb.159:                              ;   in Loop: Header=BB27_16 Depth=1
	s_waitcnt vmcnt(0)
	v_pk_mov_b32 v[38:39], v[50:51], v[50:51] op_sel:[0,1]
	v_bfe_u32 v9, v39, 16, 1
	v_add3_u32 v9, v39, v9, s39
.LBB27_160:                             ;   in Loop: Header=BB27_16 Depth=1
	s_andn2_saveexec_b64 s[6:7], s[6:7]
	s_cbranch_execz .LBB27_162
; %bb.161:                              ;   in Loop: Header=BB27_16 Depth=1
	s_waitcnt vmcnt(0)
	v_pk_mov_b32 v[38:39], v[50:51], v[50:51] op_sel:[0,1]
	v_or_b32_e32 v9, 0x10000, v39
	v_cmp_eq_u32_sdwa vcc, v39, v1 src0_sel:WORD_0 src1_sel:DWORD
	v_cndmask_b32_e32 v9, v9, v39, vcc
.LBB27_162:                             ;   in Loop: Header=BB27_16 Depth=1
	s_or_b64 exec, exec, s[6:7]
	v_add_u32_e32 v38, 5, v0
	s_waitcnt vmcnt(0)
	v_mov_b32_e32 v39, v1
	v_lshlrev_b64 v[38:39], 1, v[38:39]
	s_waitcnt lgkmcnt(0)
	v_mov_b32_e32 v40, s25
	v_add_co_u32_e32 v38, vcc, s24, v38
	v_addc_co_u32_e32 v39, vcc, v40, v39, vcc
	global_store_short_d16_hi v[38:39], v9, off
	s_or_b64 exec, exec, s[4:5]
	s_and_b64 exec, exec, s[14:15]
	s_cbranch_execz .LBB27_168
.LBB27_163:                             ;   in Loop: Header=BB27_16 Depth=1
	v_and_b32_e32 v9, 0x7f800000, v50
	v_cmp_ne_u32_e32 vcc, s40, v9
                                        ; implicit-def: $vgpr9
	s_and_saveexec_b64 s[4:5], vcc
	s_xor_b64 s[4:5], exec, s[4:5]
; %bb.164:                              ;   in Loop: Header=BB27_16 Depth=1
	v_bfe_u32 v9, v50, 16, 1
	v_add3_u32 v9, v50, v9, s39
                                        ; implicit-def: $vgpr50
; %bb.165:                              ;   in Loop: Header=BB27_16 Depth=1
	s_andn2_saveexec_b64 s[4:5], s[4:5]
; %bb.166:                              ;   in Loop: Header=BB27_16 Depth=1
	v_or_b32_e32 v9, 0x10000, v50
	v_cmp_eq_u32_sdwa vcc, v50, v1 src0_sel:WORD_0 src1_sel:DWORD
	v_cndmask_b32_e32 v9, v9, v50, vcc
; %bb.167:                              ;   in Loop: Header=BB27_16 Depth=1
	s_or_b64 exec, exec, s[4:5]
	v_add_u32_e32 v0, 6, v0
	s_waitcnt vmcnt(0)
	v_lshlrev_b64 v[38:39], 1, v[0:1]
	s_waitcnt lgkmcnt(0)
	v_mov_b32_e32 v0, s25
	v_add_co_u32_e32 v38, vcc, s24, v38
	v_addc_co_u32_e32 v39, vcc, v0, v39, vcc
	global_store_short_d16_hi v[38:39], v9, off
.LBB27_168:                             ;   in Loop: Header=BB27_16 Depth=1
	s_or_b64 exec, exec, s[30:31]
	buffer_load_dword v38, off, s[44:47], 0 offset:104 ; 4-byte Folded Reload
	buffer_load_dword v39, off, s[44:47], 0 offset:108 ; 4-byte Folded Reload
	s_waitcnt vmcnt(1)
	v_add_u32_e32 v38, s33, v38
	v_add_u32_e32 v0, 7, v38
	v_cmp_gt_u32_e32 vcc, s19, v38
	v_cmp_le_u32_e64 s[4:5], s19, v0
	s_and_b64 s[4:5], vcc, s[4:5]
	s_and_saveexec_b64 s[6:7], s[4:5]
	s_cbranch_execz .LBB27_15
; %bb.169:                              ;   in Loop: Header=BB27_16 Depth=1
	v_cmp_ne_u32_e32 vcc, s38, v38
	s_and_saveexec_b64 s[8:9], vcc
	s_cbranch_execz .LBB27_14
; %bb.170:                              ;   in Loop: Header=BB27_16 Depth=1
	v_subrev_u32_e32 v0, s38, v38
	v_cmp_lt_u32_e32 vcc, 1, v0
	v_cndmask_b32_e32 v0, 1, v0, vcc
	s_mov_b64 s[10:11], 0
	s_mov_b64 s[12:13], 0
.LBB27_171:                             ;   Parent Loop BB27_16 Depth=1
                                        ; =>  This Inner Loop Header: Depth=2
	s_cmp_lg_u32 s12, 6
	s_cselect_b64 vcc, -1, 0
	s_cmp_lg_u32 s12, 5
	v_cndmask_b32_e32 v8, 0, v8, vcc
	s_cselect_b64 vcc, -1, 0
	s_cmp_lg_u32 s12, 4
	v_cndmask_b32_e32 v7, 0, v7, vcc
	;; [unrolled: 3-line block ×6, first 2 shown]
	s_cselect_b64 vcc, -1, 0
	s_add_u32 s12, s12, 1
	s_addc_u32 s13, s13, 0
	v_cmp_eq_u32_e64 s[4:5], s12, v0
	s_or_b64 s[10:11], s[4:5], s[10:11]
	v_cndmask_b32_e32 v2, 0, v2, vcc
	s_andn2_b64 exec, exec, s[10:11]
	s_cbranch_execnz .LBB27_171
; %bb.172:                              ;   in Loop: Header=BB27_16 Depth=1
	s_or_b64 exec, exec, s[10:11]
	s_branch .LBB27_14
.LBB27_173:
	s_endpgm
	.section	.rodata,"a",@progbits
	.p2align	6, 0x0
	.amdhsa_kernel _Z12wvSplitK_hf_I14__hip_bfloat16Li64ELi7ELi16ELi8ELi1ELi3EEviiPKT_S3_PS1_ii
		.amdhsa_group_segment_fixed_size 65536
		.amdhsa_private_segment_fixed_size 116
		.amdhsa_kernarg_size 40
		.amdhsa_user_sgpr_count 6
		.amdhsa_user_sgpr_private_segment_buffer 1
		.amdhsa_user_sgpr_dispatch_ptr 0
		.amdhsa_user_sgpr_queue_ptr 0
		.amdhsa_user_sgpr_kernarg_segment_ptr 1
		.amdhsa_user_sgpr_dispatch_id 0
		.amdhsa_user_sgpr_flat_scratch_init 0
		.amdhsa_user_sgpr_kernarg_preload_length 0
		.amdhsa_user_sgpr_kernarg_preload_offset 0
		.amdhsa_user_sgpr_private_segment_size 0
		.amdhsa_uses_dynamic_stack 0
		.amdhsa_system_sgpr_private_segment_wavefront_offset 1
		.amdhsa_system_sgpr_workgroup_id_x 1
		.amdhsa_system_sgpr_workgroup_id_y 0
		.amdhsa_system_sgpr_workgroup_id_z 0
		.amdhsa_system_sgpr_workgroup_info 0
		.amdhsa_system_vgpr_workitem_id 1
		.amdhsa_next_free_vgpr 128
		.amdhsa_next_free_sgpr 48
		.amdhsa_accum_offset 128
		.amdhsa_reserve_vcc 1
		.amdhsa_reserve_flat_scratch 0
		.amdhsa_float_round_mode_32 0
		.amdhsa_float_round_mode_16_64 0
		.amdhsa_float_denorm_mode_32 3
		.amdhsa_float_denorm_mode_16_64 3
		.amdhsa_dx10_clamp 1
		.amdhsa_ieee_mode 1
		.amdhsa_fp16_overflow 0
		.amdhsa_tg_split 0
		.amdhsa_exception_fp_ieee_invalid_op 0
		.amdhsa_exception_fp_denorm_src 0
		.amdhsa_exception_fp_ieee_div_zero 0
		.amdhsa_exception_fp_ieee_overflow 0
		.amdhsa_exception_fp_ieee_underflow 0
		.amdhsa_exception_fp_ieee_inexact 0
		.amdhsa_exception_int_div_zero 0
	.end_amdhsa_kernel
	.section	.text._Z12wvSplitK_hf_I14__hip_bfloat16Li64ELi7ELi16ELi8ELi1ELi3EEviiPKT_S3_PS1_ii,"axG",@progbits,_Z12wvSplitK_hf_I14__hip_bfloat16Li64ELi7ELi16ELi8ELi1ELi3EEviiPKT_S3_PS1_ii,comdat
.Lfunc_end27:
	.size	_Z12wvSplitK_hf_I14__hip_bfloat16Li64ELi7ELi16ELi8ELi1ELi3EEviiPKT_S3_PS1_ii, .Lfunc_end27-_Z12wvSplitK_hf_I14__hip_bfloat16Li64ELi7ELi16ELi8ELi1ELi3EEviiPKT_S3_PS1_ii
                                        ; -- End function
	.section	.AMDGPU.csdata,"",@progbits
; Kernel info:
; codeLenInByte = 10696
; NumSgprs: 52
; NumVgprs: 128
; NumAgprs: 0
; TotalNumVgprs: 128
; ScratchSize: 116
; MemoryBound: 0
; FloatMode: 240
; IeeeMode: 1
; LDSByteSize: 65536 bytes/workgroup (compile time only)
; SGPRBlocks: 6
; VGPRBlocks: 15
; NumSGPRsForWavesPerEU: 52
; NumVGPRsForWavesPerEU: 128
; AccumOffset: 128
; Occupancy: 4
; WaveLimiterHint : 0
; COMPUTE_PGM_RSRC2:SCRATCH_EN: 1
; COMPUTE_PGM_RSRC2:USER_SGPR: 6
; COMPUTE_PGM_RSRC2:TRAP_HANDLER: 0
; COMPUTE_PGM_RSRC2:TGID_X_EN: 1
; COMPUTE_PGM_RSRC2:TGID_Y_EN: 0
; COMPUTE_PGM_RSRC2:TGID_Z_EN: 0
; COMPUTE_PGM_RSRC2:TIDIG_COMP_CNT: 1
; COMPUTE_PGM_RSRC3_GFX90A:ACCUM_OFFSET: 31
; COMPUTE_PGM_RSRC3_GFX90A:TG_SPLIT: 0
	.section	.text._Z16wvSplitK_hf_big_I14__hip_bfloat16Li64ELi7ELi16ELi8ELi1ELi3EEviiPKT_S3_PS1_ii,"axG",@progbits,_Z16wvSplitK_hf_big_I14__hip_bfloat16Li64ELi7ELi16ELi8ELi1ELi3EEviiPKT_S3_PS1_ii,comdat
	.protected	_Z16wvSplitK_hf_big_I14__hip_bfloat16Li64ELi7ELi16ELi8ELi1ELi3EEviiPKT_S3_PS1_ii ; -- Begin function _Z16wvSplitK_hf_big_I14__hip_bfloat16Li64ELi7ELi16ELi8ELi1ELi3EEviiPKT_S3_PS1_ii
	.globl	_Z16wvSplitK_hf_big_I14__hip_bfloat16Li64ELi7ELi16ELi8ELi1ELi3EEviiPKT_S3_PS1_ii
	.p2align	8
	.type	_Z16wvSplitK_hf_big_I14__hip_bfloat16Li64ELi7ELi16ELi8ELi1ELi3EEviiPKT_S3_PS1_ii,@function
_Z16wvSplitK_hf_big_I14__hip_bfloat16Li64ELi7ELi16ELi8ELi1ELi3EEviiPKT_S3_PS1_ii: ; @_Z16wvSplitK_hf_big_I14__hip_bfloat16Li64ELi7ELi16ELi8ELi1ELi3EEviiPKT_S3_PS1_ii
; %bb.0:
	s_load_dwordx2 s[2:3], s[4:5], 0x20
	v_bfe_u32 v1, v0, 10, 10
	s_waitcnt lgkmcnt(0)
	v_cmp_gt_u32_e32 vcc, s2, v1
	s_and_saveexec_b64 s[0:1], vcc
	s_cbranch_execz .LBB28_162
; %bb.1:
	s_load_dwordx2 s[24:25], s[4:5], 0x0
	s_mul_i32 s6, s6, s2
	v_add_u32_e32 v2, s6, v1
	v_mul_lo_u32 v30, v2, 7
	v_add_u32_e32 v2, 7, v30
	s_mov_b32 s8, 1
	s_waitcnt lgkmcnt(0)
	v_cmp_gt_u32_e32 vcc, s25, v30
	v_cmp_le_u32_e64 s[0:1], s25, v2
	s_mov_b32 s9, s8
	s_mov_b32 s10, s8
	s_mov_b32 s11, s8
	s_mov_b32 s12, s8
	s_mov_b32 s13, s8
	s_mov_b32 s14, s8
	v_mov_b32_e32 v2, s8
	s_and_b64 s[6:7], vcc, s[0:1]
	v_mov_b32_e32 v3, s9
	v_mov_b32_e32 v4, s10
	;; [unrolled: 1-line block ×6, first 2 shown]
	s_and_saveexec_b64 s[0:1], s[6:7]
	s_cbranch_execz .LBB28_7
; %bb.2:
	s_add_i32 s15, s25, -7
	v_mov_b32_e32 v2, s8
	v_cmp_ne_u32_e32 vcc, s15, v30
	v_mov_b32_e32 v3, s9
	v_mov_b32_e32 v4, s10
	;; [unrolled: 1-line block ×6, first 2 shown]
	s_and_saveexec_b64 s[6:7], vcc
	s_cbranch_execz .LBB28_6
; %bb.3:
	v_subrev_u32_e32 v2, s15, v30
	v_cmp_lt_u32_e32 vcc, 1, v2
	v_cndmask_b32_e32 v10, 1, v2, vcc
	s_mov_b64 s[16:17], 0
	s_mov_b64 s[18:19], 0
	s_mov_b32 s9, s8
	s_mov_b32 s10, s8
	;; [unrolled: 1-line block ×6, first 2 shown]
.LBB28_4:                               ; =>This Inner Loop Header: Depth=1
	s_cmp_lg_u32 s18, 6
	s_cselect_b32 s14, s14, 0
	s_cmp_lg_u32 s18, 5
	s_cselect_b32 s13, s13, 0
	;; [unrolled: 2-line block ×7, first 2 shown]
	s_add_u32 s18, s18, 1
	s_addc_u32 s19, s19, 0
	v_cmp_eq_u32_e32 vcc, s18, v10
	v_mov_b32_e32 v2, s8
	s_or_b64 s[16:17], vcc, s[16:17]
	v_mov_b32_e32 v3, s9
	v_mov_b32_e32 v4, s10
	;; [unrolled: 1-line block ×6, first 2 shown]
	s_andn2_b64 exec, exec, s[16:17]
	s_cbranch_execnz .LBB28_4
; %bb.5:
	s_or_b64 exec, exec, s[16:17]
	v_mov_b32_e32 v30, s15
.LBB28_6:
	s_or_b64 exec, exec, s[6:7]
.LBB28_7:
	s_or_b64 exec, exec, s[0:1]
	s_mul_i32 s44, s2, 7
	s_abs_i32 s0, s44
	v_cvt_f32_u32_e32 v9, s0
	s_sub_i32 s7, 0, s0
	s_abs_i32 s6, s25
	s_ashr_i32 s1, s25, 31
	v_rcp_iflag_f32_e32 v9, v9
	v_mul_f32_e32 v9, 0x4f7ffffe, v9
	v_cvt_u32_f32_e32 v9, v9
	v_readfirstlane_b32 s8, v9
	s_mul_i32 s7, s7, s8
	s_mul_hi_u32 s7, s8, s7
	s_add_i32 s8, s8, s7
	s_mul_hi_u32 s7, s6, s8
	s_mul_i32 s7, s7, s0
	s_sub_i32 s6, s6, s7
	s_sub_i32 s7, s6, s0
	s_cmp_ge_u32 s6, s0
	s_cselect_b32 s6, s7, s6
	s_sub_i32 s7, s6, s0
	s_cmp_ge_u32 s6, s0
	s_cselect_b32 s0, s7, s6
	s_xor_b32 s0, s0, s1
	s_sub_i32 s0, s0, s1
	s_add_i32 s1, s44, s25
	s_sub_i32 s1, s1, s0
	s_cmp_eq_u32 s0, 0
	s_cselect_b32 s33, s25, s1
	v_cmp_gt_u32_e32 vcc, s33, v30
	s_and_b64 exec, exec, vcc
	s_cbranch_execz .LBB28_162
; %bb.8:
	s_load_dwordx4 s[20:23], s[4:5], 0x8
	s_load_dwordx2 s[26:27], s[4:5], 0x18
	s_mov_b32 s0, 0
	v_cvt_f64_i32_e32 v[10:11], s24
	s_mov_b32 s1, 0x40c50000
	s_cmp_lg_u32 s24, 0
	v_min_f64 v[10:11], v[10:11], s[0:1]
	v_and_b32_e32 v0, 0x3ff, v0
	s_cselect_b64 s[4:5], -1, 0
	s_ashr_i32 s7, s24, 31
	s_mov_b32 s6, s24
	v_cvt_u32_f64_e32 v10, v[10:11]
	v_lshlrev_b32_e32 v9, 3, v0
	s_lshl_b32 s43, s2, 9
	v_cmp_eq_u32_e64 s[0:1], 63, v0
	s_add_i32 s45, s25, -7
	s_lshl_b64 s[28:29], s[6:7], 1
	v_lshlrev_b32_e32 v0, 4, v0
	s_waitcnt lgkmcnt(0)
	s_add_u32 s46, s26, 2
	v_lshl_add_u32 v99, v1, 10, v0
	v_cndmask_b32_e64 v0, 0, 1, s[4:5]
	v_cmp_ne_u32_e32 vcc, 0, v10
	v_readfirstlane_b32 s42, v10
	s_mul_i32 s44, s44, s3
	s_addc_u32 s47, s27, 0
	s_lshl_b32 s48, s2, 10
	v_lshl_add_u32 v101, v1, 9, v9
	v_cmp_ne_u32_e64 s[2:3], 1, v0
	v_cndmask_b32_e64 v0, 0, 1, vcc
	v_lshlrev_b32_e32 v98, 2, v10
	v_lshlrev_b32_e32 v100, 1, v10
	v_lshl_add_u32 v102, s24, 1, v101
	v_add_u32_e32 v103, s24, v101
	s_mov_b64 s[30:31], 0
	v_cmp_ne_u32_e64 s[4:5], 1, v0
	v_mov_b32_e32 v1, 0
	s_lshl_b32 s49, s42, 1
	s_mov_b32 s50, 0x7f800000
	s_movk_i32 s51, 0x7fff
	s_branch .LBB28_12
.LBB28_9:                               ;   in Loop: Header=BB28_12 Depth=1
	s_or_b64 exec, exec, s[10:11]
	v_mov_b32_e32 v30, s45
.LBB28_10:                              ;   in Loop: Header=BB28_12 Depth=1
	s_or_b64 exec, exec, s[8:9]
.LBB28_11:                              ;   in Loop: Header=BB28_12 Depth=1
	s_or_b64 exec, exec, s[34:35]
	v_cmp_le_u32_e32 vcc, s33, v30
	s_or_b64 s[30:31], vcc, s[30:31]
	s_andn2_b64 exec, exec, s[30:31]
	s_cbranch_execz .LBB28_162
.LBB28_12:                              ; =>This Loop Header: Depth=1
                                        ;     Child Loop BB28_16 Depth 2
                                        ;       Child Loop BB28_21 Depth 3
                                        ;     Child Loop BB28_160 Depth 2
	s_mov_b32 s14, 0
	s_and_b64 vcc, exec, s[2:3]
	v_mov_b32_e32 v33, v1
	v_mov_b32_e32 v32, v1
	;; [unrolled: 1-line block ×21, first 2 shown]
	s_cbranch_vccnz .LBB28_27
; %bb.13:                               ;   in Loop: Header=BB28_12 Depth=1
	v_mov_b32_e32 v104, 0
	v_cmp_gt_u32_e64 s[6:7], s25, v30
	v_mul_lo_u32 v31, v30, s24
	s_mov_b32 s15, 0
	v_mov_b32_e32 v50, 0
	v_mov_b32_e32 v51, v104
	;; [unrolled: 1-line block ×20, first 2 shown]
	s_branch .LBB28_16
.LBB28_14:                              ;   in Loop: Header=BB28_16 Depth=2
	s_or_b64 exec, exec, s[10:11]
.LBB28_15:                              ;   in Loop: Header=BB28_16 Depth=2
	s_or_b64 exec, exec, s[8:9]
	s_addk_i32 s15, 0x200
	s_cmp_ge_u32 s15, s24
	s_cbranch_scc1 .LBB28_27
.LBB28_16:                              ;   Parent Loop BB28_12 Depth=1
                                        ; =>  This Loop Header: Depth=2
                                        ;       Child Loop BB28_21 Depth 3
	s_cmp_eq_u32 s15, 0
	s_cselect_b64 s[8:9], -1, 0
	s_add_i32 s10, s14, s42
	s_cmp_eq_u32 s15, s10
	s_cselect_b64 s[12:13], -1, 0
	s_or_b64 s[12:13], s[8:9], s[12:13]
	s_andn2_b64 vcc, exec, s[12:13]
	s_cbranch_vccz .LBB28_18
; %bb.17:                               ;   in Loop: Header=BB28_16 Depth=2
	s_and_saveexec_b64 s[8:9], s[6:7]
	s_cbranch_execz .LBB28_15
	s_branch .LBB28_25
.LBB28_18:                              ;   in Loop: Header=BB28_16 Depth=2
	s_and_b64 s[8:9], s[8:9], exec
	s_cselect_b32 s14, s14, s10
	s_and_b64 vcc, exec, s[4:5]
	s_barrier
	s_cbranch_vccnz .LBB28_24
; %bb.19:                               ;   in Loop: Header=BB28_16 Depth=2
	v_add_u32_e32 v10, s14, v102
	v_add_u32_e32 v11, s14, v103
	;; [unrolled: 1-line block ×3, first 2 shown]
	s_mov_b32 s16, 0
	s_mov_b64 s[10:11], 0
	v_mov_b32_e32 v13, v99
                                        ; implicit-def: $sgpr12_sgpr13
	s_branch .LBB28_21
.LBB28_20:                              ;   in Loop: Header=BB28_21 Depth=3
	s_or_b64 exec, exec, s[8:9]
	s_and_b64 s[8:9], exec, s[12:13]
	s_or_b64 s[10:11], s[8:9], s[10:11]
	s_andn2_b64 exec, exec, s[10:11]
	s_cbranch_execz .LBB28_23
.LBB28_21:                              ;   Parent Loop BB28_12 Depth=1
                                        ;     Parent Loop BB28_16 Depth=2
                                        ; =>    This Inner Loop Header: Depth=3
	v_add_u32_e32 v14, s16, v101
	v_add_u32_e32 v0, s16, v12
	v_cmp_gt_u32_e32 vcc, s24, v0
	v_cmp_gt_u32_e64 s[8:9], s42, v14
	s_and_b64 s[18:19], vcc, s[8:9]
	s_or_b64 s[12:13], s[12:13], exec
	s_and_saveexec_b64 s[8:9], s[18:19]
	s_cbranch_execz .LBB28_20
; %bb.22:                               ;   in Loop: Header=BB28_21 Depth=3
	v_lshlrev_b64 v[14:15], 1, v[0:1]
	v_mov_b32_e32 v26, s23
	v_add_co_u32_e32 v22, vcc, s22, v14
	v_add_u32_e32 v0, s16, v11
	v_addc_co_u32_e32 v23, vcc, v26, v15, vcc
	v_lshlrev_b64 v[14:15], 1, v[0:1]
	v_add_co_u32_e32 v24, vcc, s22, v14
	v_add_u32_e32 v0, s16, v10
	v_addc_co_u32_e32 v25, vcc, v26, v15, vcc
	global_load_dwordx4 v[14:17], v[22:23], off
	global_load_dwordx4 v[18:21], v[24:25], off
	v_lshlrev_b64 v[22:23], 1, v[0:1]
	v_add_co_u32_e32 v22, vcc, s22, v22
	v_addc_co_u32_e32 v23, vcc, v26, v23, vcc
	global_load_dwordx4 v[22:25], v[22:23], off
	s_add_i32 s16, s16, s43
	s_cmp_ge_u32 s16, s42
	s_cselect_b64 s[18:19], -1, 0
	s_andn2_b64 s[12:13], s[12:13], exec
	s_and_b64 s[18:19], s[18:19], exec
	v_add_u32_e32 v0, v13, v100
	v_add_u32_e32 v26, v13, v98
	s_or_b64 s[12:13], s[12:13], s[18:19]
	s_waitcnt vmcnt(2)
	ds_write_b128 v13, v[14:17]
	v_add_u32_e32 v13, s48, v13
	s_waitcnt vmcnt(1)
	ds_write2_b64 v0, v[18:19], v[20:21] offset1:1
	s_waitcnt vmcnt(0)
	ds_write2_b32 v26, v22, v23 offset1:1
	ds_write2_b32 v26, v24, v25 offset0:2 offset1:3
	s_branch .LBB28_20
.LBB28_23:                              ;   in Loop: Header=BB28_16 Depth=2
	s_or_b64 exec, exec, s[10:11]
.LBB28_24:                              ;   in Loop: Header=BB28_16 Depth=2
	s_waitcnt lgkmcnt(0)
	s_barrier
	s_and_saveexec_b64 s[8:9], s[6:7]
	s_cbranch_execz .LBB28_15
.LBB28_25:                              ;   in Loop: Header=BB28_16 Depth=2
	v_add_u32_e32 v22, s15, v9
	v_cmp_gt_u32_e32 vcc, s24, v22
	s_and_saveexec_b64 s[10:11], vcc
	s_cbranch_execz .LBB28_14
; %bb.26:                               ;   in Loop: Header=BB28_16 Depth=2
	v_add_u32_e32 v0, v22, v31
	v_lshlrev_b64 v[10:11], 1, v[0:1]
	v_mov_b32_e32 v0, s21
	v_add_co_u32_e32 v10, vcc, s20, v10
	v_addc_co_u32_e32 v11, vcc, v0, v11, vcc
	global_load_dwordx4 v[18:21], v[10:11], off glc slc
	v_mov_b32_e32 v54, s29
	v_add_co_u32_e32 v10, vcc, s28, v10
	v_addc_co_u32_e32 v11, vcc, v11, v54, vcc
	global_load_dwordx4 v[14:17], v[10:11], off glc slc
	v_add_co_u32_e32 v52, vcc, s28, v10
	v_addc_co_u32_e32 v53, vcc, v11, v54, vcc
	v_subrev_u32_e32 v0, s14, v22
	global_load_dwordx4 v[10:13], v[52:53], off glc slc
	v_lshlrev_b32_e32 v22, 1, v0
	v_add_co_u32_e32 v52, vcc, s28, v52
	v_add_u32_e32 v26, s49, v22
	v_addc_co_u32_e32 v53, vcc, v53, v54, vcc
	v_add_u32_e32 v0, s49, v26
	ds_read_b128 v[22:25], v22
	ds_read_b128 v[26:29], v26
	global_load_dwordx4 v[70:73], v[52:53], off glc slc
	v_add_co_u32_e32 v52, vcc, s28, v52
	v_addc_co_u32_e32 v53, vcc, v53, v54, vcc
	v_add_co_u32_e32 v56, vcc, s28, v52
	v_addc_co_u32_e32 v57, vcc, v53, v54, vcc
	global_load_dwordx4 v[78:81], v[52:53], off glc slc
	global_load_dwordx4 v[106:109], v[56:57], off glc slc
	s_waitcnt lgkmcnt(1)
	v_and_b32_e32 v91, 0xffff0000, v22
	v_lshlrev_b32_e32 v90, 16, v22
	v_add_co_u32_e32 v22, vcc, s28, v56
	v_and_b32_e32 v97, 0xffff0000, v23
	v_lshlrev_b32_e32 v96, 16, v23
	v_addc_co_u32_e32 v23, vcc, v57, v54, vcc
	v_and_b32_e32 v85, 0xffff0000, v24
	v_lshlrev_b32_e32 v84, 16, v24
	v_and_b32_e32 v95, 0xffff0000, v25
	v_lshlrev_b32_e32 v94, 16, v25
	global_load_dwordx4 v[22:25], v[22:23], off glc slc
	s_waitcnt vmcnt(6)
	v_and_b32_e32 v61, 0xffff0000, v18
	v_lshlrev_b32_e32 v60, 16, v18
	v_and_b32_e32 v57, 0xffff0000, v19
	v_lshlrev_b32_e32 v56, 16, v19
	;; [unrolled: 2-line block ×4, first 2 shown]
	s_waitcnt vmcnt(5)
	v_and_b32_e32 v21, 0xffff0000, v14
	v_lshlrev_b32_e32 v20, 16, v14
	v_pk_mul_f32 v[62:63], v[90:91], v[60:61]
	v_and_b32_e32 v55, 0xffff0000, v15
	v_lshlrev_b32_e32 v54, 16, v15
	v_and_b32_e32 v15, 0xffff0000, v16
	v_lshlrev_b32_e32 v14, 16, v16
	;; [unrolled: 2-line block ×3, first 2 shown]
	v_pk_mul_f32 v[16:17], v[90:91], v[20:21]
	v_pk_mul_f32 v[64:65], v[96:97], v[56:57]
	;; [unrolled: 1-line block ×3, first 2 shown]
	v_mov_b32_e32 v86, v62
	v_mov_b32_e32 v87, v16
	;; [unrolled: 1-line block ×3, first 2 shown]
	v_pk_mul_f32 v[66:67], v[84:85], v[52:53]
	v_pk_mul_f32 v[76:77], v[84:85], v[14:15]
	v_mov_b32_e32 v62, v64
	v_mov_b32_e32 v63, v74
	v_mov_b32_e32 v74, v65
	v_pk_add_f32 v[16:17], v[86:87], v[16:17]
	v_mov_b32_e32 v64, v66
	v_mov_b32_e32 v65, v76
	;; [unrolled: 1-line block ×3, first 2 shown]
	v_pk_add_f32 v[62:63], v[62:63], v[74:75]
	v_pk_add_f32 v[16:17], v[50:51], v[16:17]
	v_pk_mul_f32 v[68:69], v[94:95], v[18:19]
	v_pk_mul_f32 v[82:83], v[94:95], v[58:59]
	v_pk_add_f32 v[16:17], v[16:17], v[62:63]
	v_pk_add_f32 v[50:51], v[64:65], v[76:77]
	;; [unrolled: 1-line block ×3, first 2 shown]
	v_mov_b32_e32 v50, v68
	v_mov_b32_e32 v51, v82
	;; [unrolled: 1-line block ×3, first 2 shown]
	v_pk_add_f32 v[50:51], v[50:51], v[82:83]
	v_pk_add_f32 v[50:51], v[16:17], v[50:51]
	s_waitcnt vmcnt(4)
	v_and_b32_e32 v17, 0xffff0000, v10
	v_lshlrev_b32_e32 v16, 16, v10
	v_and_b32_e32 v63, 0xffff0000, v11
	v_lshlrev_b32_e32 v62, 16, v11
	;; [unrolled: 2-line block ×4, first 2 shown]
	s_waitcnt vmcnt(3)
	v_and_b32_e32 v13, 0xffff0000, v70
	v_lshlrev_b32_e32 v12, 16, v70
	v_pk_mul_f32 v[68:69], v[90:91], v[16:17]
	v_pk_mul_f32 v[88:89], v[90:91], v[12:13]
	v_and_b32_e32 v67, 0xffff0000, v71
	v_lshlrev_b32_e32 v66, 16, v71
	v_mov_b32_e32 v112, v68
	v_mov_b32_e32 v113, v88
	;; [unrolled: 1-line block ×3, first 2 shown]
	v_pk_mul_f32 v[76:77], v[96:97], v[62:63]
	v_pk_mul_f32 v[92:93], v[96:97], v[66:67]
	v_pk_add_f32 v[68:69], v[112:113], v[88:89]
	v_and_b32_e32 v71, 0xffff0000, v72
	v_lshlrev_b32_e32 v70, 16, v72
	v_pk_add_f32 v[48:49], v[48:49], v[68:69]
	v_mov_b32_e32 v68, v76
	v_mov_b32_e32 v69, v92
	;; [unrolled: 1-line block ×3, first 2 shown]
	v_pk_mul_f32 v[82:83], v[84:85], v[10:11]
	v_pk_mul_f32 v[110:111], v[84:85], v[70:71]
	v_pk_add_f32 v[68:69], v[68:69], v[92:93]
	v_and_b32_e32 v75, 0xffff0000, v73
	v_lshlrev_b32_e32 v74, 16, v73
	v_pk_add_f32 v[48:49], v[48:49], v[68:69]
	v_mov_b32_e32 v68, v82
	v_mov_b32_e32 v69, v110
	;; [unrolled: 1-line block ×3, first 2 shown]
	v_pk_mul_f32 v[86:87], v[94:95], v[64:65]
	v_pk_mul_f32 v[72:73], v[94:95], v[74:75]
	v_pk_add_f32 v[68:69], v[68:69], v[110:111]
	v_pk_add_f32 v[48:49], v[48:49], v[68:69]
	v_mov_b32_e32 v68, v86
	v_mov_b32_e32 v69, v72
	;; [unrolled: 1-line block ×3, first 2 shown]
	v_pk_add_f32 v[68:69], v[68:69], v[72:73]
	v_pk_add_f32 v[48:49], v[48:49], v[68:69]
	s_waitcnt vmcnt(2)
	v_and_b32_e32 v69, 0xffff0000, v78
	v_lshlrev_b32_e32 v68, 16, v78
	v_and_b32_e32 v73, 0xffff0000, v79
	v_lshlrev_b32_e32 v72, 16, v79
	;; [unrolled: 2-line block ×4, first 2 shown]
	s_waitcnt vmcnt(1)
	v_and_b32_e32 v81, 0xffff0000, v106
	v_lshlrev_b32_e32 v80, 16, v106
	v_pk_mul_f32 v[86:87], v[90:91], v[68:69]
	v_pk_mul_f32 v[116:117], v[90:91], v[80:81]
	v_and_b32_e32 v83, 0xffff0000, v107
	v_lshlrev_b32_e32 v82, 16, v107
	v_mov_b32_e32 v120, v86
	v_mov_b32_e32 v121, v116
	;; [unrolled: 1-line block ×3, first 2 shown]
	v_pk_mul_f32 v[110:111], v[96:97], v[72:73]
	v_pk_mul_f32 v[106:107], v[96:97], v[82:83]
	v_pk_add_f32 v[86:87], v[120:121], v[116:117]
	v_and_b32_e32 v89, 0xffff0000, v108
	v_lshlrev_b32_e32 v88, 16, v108
	v_pk_add_f32 v[46:47], v[46:47], v[86:87]
	v_mov_b32_e32 v86, v110
	v_mov_b32_e32 v87, v106
	;; [unrolled: 1-line block ×3, first 2 shown]
	v_pk_mul_f32 v[112:113], v[84:85], v[76:77]
	v_pk_mul_f32 v[118:119], v[84:85], v[88:89]
	v_pk_add_f32 v[86:87], v[86:87], v[106:107]
	v_and_b32_e32 v93, 0xffff0000, v109
	v_lshlrev_b32_e32 v92, 16, v109
	v_pk_add_f32 v[46:47], v[46:47], v[86:87]
	v_mov_b32_e32 v86, v112
	v_mov_b32_e32 v87, v118
	;; [unrolled: 1-line block ×3, first 2 shown]
	v_pk_mul_f32 v[114:115], v[94:95], v[78:79]
	v_pk_mul_f32 v[108:109], v[94:95], v[92:93]
	v_pk_add_f32 v[86:87], v[86:87], v[118:119]
	v_pk_add_f32 v[46:47], v[46:47], v[86:87]
	v_mov_b32_e32 v86, v114
	v_mov_b32_e32 v87, v108
	;; [unrolled: 1-line block ×3, first 2 shown]
	v_pk_add_f32 v[86:87], v[86:87], v[108:109]
	v_pk_add_f32 v[46:47], v[46:47], v[86:87]
	s_waitcnt vmcnt(0)
	v_and_b32_e32 v87, 0xffff0000, v22
	v_lshlrev_b32_e32 v86, 16, v22
	v_pk_mul_f32 v[106:107], v[90:91], v[86:87]
	v_and_b32_e32 v91, 0xffff0000, v23
	v_lshlrev_b32_e32 v90, 16, v23
	v_and_b32_e32 v23, 0xffff0000, v24
	v_lshlrev_b32_e32 v22, 16, v24
	v_pk_mul_f32 v[108:109], v[84:85], v[22:23]
	v_and_b32_e32 v85, 0xffff0000, v25
	v_lshlrev_b32_e32 v84, 16, v25
	v_pk_mul_f32 v[24:25], v[94:95], v[84:85]
	s_waitcnt lgkmcnt(0)
	v_and_b32_e32 v95, 0xffff0000, v26
	v_lshlrev_b32_e32 v94, 16, v26
	v_pk_mul_f32 v[110:111], v[94:95], v[60:61]
	v_and_b32_e32 v113, 0xffff0000, v27
	v_lshlrev_b32_e32 v112, 16, v27
	v_mov_b32_e32 v120, v106
	v_mov_b32_e32 v121, v110
	v_mov_b32_e32 v110, v107
	v_pk_mul_f32 v[96:97], v[96:97], v[90:91]
	v_pk_mul_f32 v[26:27], v[112:113], v[56:57]
	v_pk_add_f32 v[106:107], v[120:121], v[110:111]
	v_and_b32_e32 v115, 0xffff0000, v28
	v_lshlrev_b32_e32 v114, 16, v28
	v_pk_add_f32 v[44:45], v[44:45], v[106:107]
	v_mov_b32_e32 v106, v96
	v_mov_b32_e32 v107, v26
	;; [unrolled: 1-line block ×3, first 2 shown]
	v_pk_mul_f32 v[116:117], v[114:115], v[52:53]
	v_pk_add_f32 v[26:27], v[106:107], v[26:27]
	v_and_b32_e32 v119, 0xffff0000, v29
	v_lshlrev_b32_e32 v118, 16, v29
	v_pk_add_f32 v[26:27], v[44:45], v[26:27]
	v_mov_b32_e32 v44, v108
	v_mov_b32_e32 v45, v116
	;; [unrolled: 1-line block ×3, first 2 shown]
	v_pk_mul_f32 v[28:29], v[118:119], v[18:19]
	v_pk_add_f32 v[44:45], v[44:45], v[116:117]
	v_pk_add_f32 v[26:27], v[26:27], v[44:45]
	v_mov_b32_e32 v44, v24
	v_mov_b32_e32 v45, v28
	;; [unrolled: 1-line block ×3, first 2 shown]
	v_pk_add_f32 v[24:25], v[44:45], v[28:29]
	v_pk_add_f32 v[44:45], v[26:27], v[24:25]
	v_pk_mul_f32 v[24:25], v[94:95], v[20:21]
	v_pk_mul_f32 v[106:107], v[94:95], v[16:17]
	v_mov_b32_e32 v120, v24
	v_mov_b32_e32 v121, v106
	v_mov_b32_e32 v106, v25
	v_pk_mul_f32 v[26:27], v[112:113], v[54:55]
	v_pk_mul_f32 v[108:109], v[112:113], v[62:63]
	v_pk_add_f32 v[24:25], v[120:121], v[106:107]
	v_pk_add_f32 v[24:25], v[42:43], v[24:25]
	v_mov_b32_e32 v42, v26
	v_mov_b32_e32 v43, v108
	v_mov_b32_e32 v108, v27
	v_pk_mul_f32 v[28:29], v[114:115], v[14:15]
	v_pk_mul_f32 v[110:111], v[114:115], v[10:11]
	v_pk_add_f32 v[26:27], v[42:43], v[108:109]
	v_pk_add_f32 v[24:25], v[24:25], v[26:27]
	v_mov_b32_e32 v26, v28
	v_mov_b32_e32 v27, v110
	v_mov_b32_e32 v110, v29
	v_pk_mul_f32 v[96:97], v[118:119], v[58:59]
	v_pk_mul_f32 v[116:117], v[118:119], v[64:65]
	v_pk_add_f32 v[26:27], v[26:27], v[110:111]
	v_pk_add_f32 v[24:25], v[24:25], v[26:27]
	v_mov_b32_e32 v26, v96
	v_mov_b32_e32 v27, v116
	;; [unrolled: 1-line block ×3, first 2 shown]
	v_pk_add_f32 v[26:27], v[26:27], v[116:117]
	v_pk_add_f32 v[42:43], v[24:25], v[26:27]
	v_pk_mul_f32 v[24:25], v[94:95], v[12:13]
	v_pk_mul_f32 v[106:107], v[94:95], v[68:69]
	v_mov_b32_e32 v120, v24
	v_mov_b32_e32 v121, v106
	v_mov_b32_e32 v106, v25
	v_pk_mul_f32 v[26:27], v[112:113], v[66:67]
	v_pk_mul_f32 v[108:109], v[112:113], v[72:73]
	v_pk_add_f32 v[24:25], v[120:121], v[106:107]
	v_pk_add_f32 v[24:25], v[40:41], v[24:25]
	v_mov_b32_e32 v40, v26
	v_mov_b32_e32 v41, v108
	v_mov_b32_e32 v108, v27
	v_pk_mul_f32 v[28:29], v[114:115], v[70:71]
	v_pk_mul_f32 v[110:111], v[114:115], v[76:77]
	v_pk_add_f32 v[26:27], v[40:41], v[108:109]
	v_pk_add_f32 v[24:25], v[24:25], v[26:27]
	;; [unrolled: 7-line block ×3, first 2 shown]
	v_mov_b32_e32 v26, v96
	v_mov_b32_e32 v27, v116
	;; [unrolled: 1-line block ×3, first 2 shown]
	v_pk_add_f32 v[26:27], v[26:27], v[116:117]
	v_pk_add_f32 v[40:41], v[24:25], v[26:27]
	v_pk_mul_f32 v[24:25], v[94:95], v[80:81]
	v_pk_mul_f32 v[94:95], v[94:95], v[86:87]
	;; [unrolled: 1-line block ×4, first 2 shown]
	v_mov_b32_e32 v112, v24
	v_mov_b32_e32 v113, v94
	;; [unrolled: 1-line block ×3, first 2 shown]
	v_pk_add_f32 v[24:25], v[112:113], v[94:95]
	v_pk_add_f32 v[24:25], v[38:39], v[24:25]
	v_mov_b32_e32 v38, v26
	v_mov_b32_e32 v39, v106
	;; [unrolled: 1-line block ×3, first 2 shown]
	v_pk_mul_f32 v[28:29], v[114:115], v[88:89]
	v_pk_mul_f32 v[108:109], v[114:115], v[22:23]
	v_pk_add_f32 v[26:27], v[38:39], v[106:107]
	v_pk_add_f32 v[24:25], v[24:25], v[26:27]
	v_mov_b32_e32 v26, v28
	v_mov_b32_e32 v27, v108
	;; [unrolled: 1-line block ×3, first 2 shown]
	v_pk_add_f32 v[26:27], v[26:27], v[108:109]
	v_pk_add_f32 v[28:29], v[24:25], v[26:27]
	ds_read_b128 v[24:27], v0
	v_pk_mul_f32 v[96:97], v[118:119], v[92:93]
	v_pk_mul_f32 v[110:111], v[118:119], v[84:85]
	v_mov_b32_e32 v38, v96
	v_mov_b32_e32 v39, v110
	;; [unrolled: 1-line block ×3, first 2 shown]
	v_pk_add_f32 v[38:39], v[38:39], v[110:111]
	v_pk_add_f32 v[38:39], v[28:29], v[38:39]
	s_waitcnt lgkmcnt(0)
	v_and_b32_e32 v29, 0xffff0000, v24
	v_lshlrev_b32_e32 v28, 16, v24
	v_pk_mul_f32 v[60:61], v[28:29], v[60:61]
	v_and_b32_e32 v95, 0xffff0000, v25
	v_lshlrev_b32_e32 v94, 16, v25
	v_and_b32_e32 v97, 0xffff0000, v27
	v_lshlrev_b32_e32 v96, 16, v27
	v_pk_mul_f32 v[20:21], v[28:29], v[20:21]
	v_pk_mul_f32 v[24:25], v[94:95], v[56:57]
	v_and_b32_e32 v57, 0xffff0000, v26
	v_lshlrev_b32_e32 v56, 16, v26
	v_pk_mul_f32 v[26:27], v[94:95], v[54:55]
	v_pk_mul_f32 v[54:55], v[96:97], v[58:59]
	v_mov_b32_e32 v58, v60
	v_mov_b32_e32 v59, v20
	;; [unrolled: 1-line block ×3, first 2 shown]
	v_pk_add_f32 v[20:21], v[58:59], v[20:21]
	v_pk_add_f32 v[20:21], v[36:37], v[20:21]
	v_mov_b32_e32 v36, v24
	v_mov_b32_e32 v37, v26
	;; [unrolled: 1-line block ×3, first 2 shown]
	v_pk_mul_f32 v[52:53], v[56:57], v[52:53]
	v_pk_mul_f32 v[14:15], v[56:57], v[14:15]
	v_pk_add_f32 v[24:25], v[36:37], v[26:27]
	v_pk_add_f32 v[20:21], v[20:21], v[24:25]
	v_mov_b32_e32 v24, v52
	v_mov_b32_e32 v25, v14
	;; [unrolled: 1-line block ×3, first 2 shown]
	v_pk_mul_f32 v[18:19], v[96:97], v[18:19]
	v_pk_add_f32 v[14:15], v[24:25], v[14:15]
	v_pk_add_f32 v[14:15], v[20:21], v[14:15]
	v_mov_b32_e32 v20, v18
	v_mov_b32_e32 v21, v54
	;; [unrolled: 1-line block ×3, first 2 shown]
	v_pk_add_f32 v[18:19], v[20:21], v[54:55]
	v_pk_add_f32 v[36:37], v[14:15], v[18:19]
	v_pk_mul_f32 v[14:15], v[28:29], v[16:17]
	v_pk_mul_f32 v[12:13], v[28:29], v[12:13]
	;; [unrolled: 1-line block ×4, first 2 shown]
	v_mov_b32_e32 v52, v14
	v_mov_b32_e32 v53, v12
	;; [unrolled: 1-line block ×3, first 2 shown]
	v_pk_add_f32 v[12:13], v[52:53], v[12:13]
	v_mov_b32_e32 v14, v16
	v_mov_b32_e32 v15, v20
	;; [unrolled: 1-line block ×3, first 2 shown]
	v_pk_mul_f32 v[10:11], v[56:57], v[10:11]
	v_pk_mul_f32 v[24:25], v[56:57], v[70:71]
	v_pk_add_f32 v[12:13], v[34:35], v[12:13]
	v_pk_add_f32 v[14:15], v[14:15], v[20:21]
	;; [unrolled: 1-line block ×3, first 2 shown]
	v_mov_b32_e32 v14, v10
	v_mov_b32_e32 v15, v24
	;; [unrolled: 1-line block ×3, first 2 shown]
	v_pk_mul_f32 v[18:19], v[96:97], v[64:65]
	v_pk_mul_f32 v[26:27], v[96:97], v[74:75]
	v_pk_add_f32 v[10:11], v[14:15], v[24:25]
	v_pk_add_f32 v[10:11], v[12:13], v[10:11]
	v_mov_b32_e32 v12, v18
	v_mov_b32_e32 v13, v26
	;; [unrolled: 1-line block ×3, first 2 shown]
	v_pk_add_f32 v[12:13], v[12:13], v[26:27]
	v_pk_add_f32 v[34:35], v[10:11], v[12:13]
	v_pk_mul_f32 v[10:11], v[28:29], v[68:69]
	v_pk_mul_f32 v[18:19], v[28:29], v[80:81]
	;; [unrolled: 1-line block ×4, first 2 shown]
	v_mov_b32_e32 v52, v10
	v_mov_b32_e32 v53, v18
	;; [unrolled: 1-line block ×3, first 2 shown]
	v_pk_add_f32 v[10:11], v[52:53], v[18:19]
	v_mov_b32_e32 v18, v12
	v_mov_b32_e32 v19, v20
	;; [unrolled: 1-line block ×3, first 2 shown]
	v_pk_mul_f32 v[14:15], v[56:57], v[76:77]
	v_pk_mul_f32 v[24:25], v[56:57], v[88:89]
	v_pk_add_f32 v[10:11], v[32:33], v[10:11]
	v_pk_add_f32 v[12:13], v[18:19], v[20:21]
	;; [unrolled: 1-line block ×3, first 2 shown]
	v_mov_b32_e32 v12, v14
	v_mov_b32_e32 v13, v24
	;; [unrolled: 1-line block ×3, first 2 shown]
	v_pk_mul_f32 v[16:17], v[96:97], v[78:79]
	v_pk_mul_f32 v[26:27], v[96:97], v[92:93]
	v_pk_add_f32 v[12:13], v[12:13], v[24:25]
	v_pk_add_f32 v[10:11], v[10:11], v[12:13]
	v_mov_b32_e32 v12, v16
	v_mov_b32_e32 v13, v26
	;; [unrolled: 1-line block ×3, first 2 shown]
	v_pk_add_f32 v[12:13], v[12:13], v[26:27]
	v_pk_add_f32 v[32:33], v[10:11], v[12:13]
	v_pk_mul_f32 v[10:11], v[28:29], v[86:87]
	v_pk_mul_f32 v[12:13], v[94:95], v[90:91]
	v_mov_b32_e32 v14, v10
	v_mov_b32_e32 v15, v12
	;; [unrolled: 1-line block ×3, first 2 shown]
	v_pk_add_f32 v[10:11], v[14:15], v[12:13]
	v_add_f32_e32 v0, v104, v10
	v_add_f32_e32 v0, v0, v11
	v_pk_mul_f32 v[10:11], v[56:57], v[22:23]
	v_pk_mul_f32 v[12:13], v[96:97], v[84:85]
	v_mov_b32_e32 v14, v10
	v_mov_b32_e32 v15, v12
	;; [unrolled: 1-line block ×3, first 2 shown]
	v_pk_add_f32 v[10:11], v[14:15], v[12:13]
	v_add_f32_e32 v0, v0, v10
	v_add_f32_e32 v104, v0, v11
	s_branch .LBB28_14
.LBB28_27:                              ;   in Loop: Header=BB28_12 Depth=1
	v_cmp_le_u32_e32 vcc, s25, v30
	s_and_saveexec_b64 s[6:7], vcc
	s_xor_b64 s[6:7], exec, s[6:7]
; %bb.28:                               ;   in Loop: Header=BB28_12 Depth=1
	v_add_u32_e32 v30, s44, v30
                                        ; implicit-def: $vgpr33
                                        ; implicit-def: $vgpr35
                                        ; implicit-def: $vgpr37
                                        ; implicit-def: $vgpr39
                                        ; implicit-def: $vgpr41
                                        ; implicit-def: $vgpr43
                                        ; implicit-def: $vgpr45
                                        ; implicit-def: $vgpr47
                                        ; implicit-def: $vgpr49
                                        ; implicit-def: $vgpr51
                                        ; implicit-def: $vgpr104
; %bb.29:                               ;   in Loop: Header=BB28_12 Depth=1
	s_andn2_saveexec_b64 s[34:35], s[6:7]
	s_cbranch_execz .LBB28_11
; %bb.30:                               ;   in Loop: Header=BB28_12 Depth=1
	;;#ASMSTART
	s_nop 0
	v_add_f32 v50, v50, v50 row_shr:8 bound_ctrl:0 
	;;#ASMEND
	;;#ASMSTART
	s_nop 0
	v_add_f32 v51, v51, v51 row_shr:8 bound_ctrl:0 
	;;#ASMEND
	;; [unrolled: 4-line block ×63, first 2 shown]
	;;#ASMSTART
	s_nop 0
	v_add_f32 v50, v50, v50 wave_shr:1 bound_ctrl:0
	;;#ASMEND
	;;#ASMSTART
	s_nop 0
	v_add_f32 v51, v51, v51 wave_shr:1 bound_ctrl:0
	;;#ASMEND
	;; [unrolled: 4-line block ×21, first 2 shown]
	;;#ASMSTART
	s_nop 0
	v_add_f32 v50, v50, v50 row_bcast:15 bound_ctrl:0
	;;#ASMEND
	;;#ASMSTART
	s_nop 0
	v_add_f32 v51, v51, v51 row_bcast:15 bound_ctrl:0
	;;#ASMEND
	;;#ASMSTART
	s_nop 0
	v_add_f32 v48, v48, v48 row_bcast:15 bound_ctrl:0
	;;#ASMEND
	;;#ASMSTART
	s_nop 0
	v_add_f32 v49, v49, v49 row_bcast:15 bound_ctrl:0
	;;#ASMEND
	;;#ASMSTART
	s_nop 0
	v_add_f32 v46, v46, v46 row_bcast:15 bound_ctrl:0
	;;#ASMEND
	;;#ASMSTART
	s_nop 0
	v_add_f32 v47, v47, v47 row_bcast:15 bound_ctrl:0
	;;#ASMEND
	;;#ASMSTART
	s_nop 0
	v_add_f32 v44, v44, v44 row_bcast:15 bound_ctrl:0
	;;#ASMEND
	;;#ASMSTART
	s_nop 0
	v_add_f32 v45, v45, v45 row_bcast:15 bound_ctrl:0
	;;#ASMEND
	;;#ASMSTART
	s_nop 0
	v_add_f32 v42, v42, v42 row_bcast:15 bound_ctrl:0
	;;#ASMEND
	;;#ASMSTART
	s_nop 0
	v_add_f32 v43, v43, v43 row_bcast:15 bound_ctrl:0
	;;#ASMEND
	;;#ASMSTART
	s_nop 0
	v_add_f32 v40, v40, v40 row_bcast:15 bound_ctrl:0
	;;#ASMEND
	;;#ASMSTART
	s_nop 0
	v_add_f32 v41, v41, v41 row_bcast:15 bound_ctrl:0
	;;#ASMEND
	;;#ASMSTART
	s_nop 0
	v_add_f32 v38, v38, v38 row_bcast:15 bound_ctrl:0
	;;#ASMEND
	;;#ASMSTART
	s_nop 0
	v_add_f32 v39, v39, v39 row_bcast:15 bound_ctrl:0
	;;#ASMEND
	;;#ASMSTART
	s_nop 0
	v_add_f32 v36, v36, v36 row_bcast:15 bound_ctrl:0
	;;#ASMEND
	;;#ASMSTART
	s_nop 0
	v_add_f32 v37, v37, v37 row_bcast:15 bound_ctrl:0
	;;#ASMEND
	;;#ASMSTART
	s_nop 0
	v_add_f32 v34, v34, v34 row_bcast:15 bound_ctrl:0
	;;#ASMEND
	;;#ASMSTART
	s_nop 0
	v_add_f32 v35, v35, v35 row_bcast:15 bound_ctrl:0
	;;#ASMEND
	;;#ASMSTART
	s_nop 0
	v_add_f32 v32, v32, v32 row_bcast:15 bound_ctrl:0
	;;#ASMEND
	;;#ASMSTART
	s_nop 0
	v_add_f32 v33, v33, v33 row_bcast:15 bound_ctrl:0
	;;#ASMEND
	;;#ASMSTART
	s_nop 0
	v_add_f32 v104, v104, v104 row_bcast:15 bound_ctrl:0
	;;#ASMEND
	;;#ASMSTART
	s_nop 0
	v_add_f32 v50, v50, v50 row_bcast:31 bound_ctrl:0
	;;#ASMEND
	;;#ASMSTART
	s_nop 0
	v_add_f32 v51, v51, v51 row_bcast:31 bound_ctrl:0
	;;#ASMEND
	;;#ASMSTART
	s_nop 0
	v_add_f32 v48, v48, v48 row_bcast:31 bound_ctrl:0
	;;#ASMEND
	;;#ASMSTART
	s_nop 0
	v_add_f32 v49, v49, v49 row_bcast:31 bound_ctrl:0
	;;#ASMEND
	;;#ASMSTART
	s_nop 0
	v_add_f32 v46, v46, v46 row_bcast:31 bound_ctrl:0
	;;#ASMEND
	;;#ASMSTART
	s_nop 0
	v_add_f32 v47, v47, v47 row_bcast:31 bound_ctrl:0
	;;#ASMEND
	;;#ASMSTART
	s_nop 0
	v_add_f32 v44, v44, v44 row_bcast:31 bound_ctrl:0
	;;#ASMEND
	;;#ASMSTART
	s_nop 0
	v_add_f32 v45, v45, v45 row_bcast:31 bound_ctrl:0
	;;#ASMEND
	;;#ASMSTART
	s_nop 0
	v_add_f32 v42, v42, v42 row_bcast:31 bound_ctrl:0
	;;#ASMEND
	;;#ASMSTART
	s_nop 0
	v_add_f32 v43, v43, v43 row_bcast:31 bound_ctrl:0
	;;#ASMEND
	;;#ASMSTART
	s_nop 0
	v_add_f32 v40, v40, v40 row_bcast:31 bound_ctrl:0
	;;#ASMEND
	;;#ASMSTART
	s_nop 0
	v_add_f32 v41, v41, v41 row_bcast:31 bound_ctrl:0
	;;#ASMEND
	;;#ASMSTART
	s_nop 0
	v_add_f32 v38, v38, v38 row_bcast:31 bound_ctrl:0
	;;#ASMEND
	;;#ASMSTART
	s_nop 0
	v_add_f32 v39, v39, v39 row_bcast:31 bound_ctrl:0
	;;#ASMEND
	;;#ASMSTART
	s_nop 0
	v_add_f32 v36, v36, v36 row_bcast:31 bound_ctrl:0
	;;#ASMEND
	;;#ASMSTART
	s_nop 0
	v_add_f32 v37, v37, v37 row_bcast:31 bound_ctrl:0
	;;#ASMEND
	;;#ASMSTART
	s_nop 0
	v_add_f32 v34, v34, v34 row_bcast:31 bound_ctrl:0
	;;#ASMEND
	;;#ASMSTART
	s_nop 0
	v_add_f32 v35, v35, v35 row_bcast:31 bound_ctrl:0
	;;#ASMEND
	;;#ASMSTART
	s_nop 0
	v_add_f32 v32, v32, v32 row_bcast:31 bound_ctrl:0
	;;#ASMEND
	;;#ASMSTART
	s_nop 0
	v_add_f32 v33, v33, v33 row_bcast:31 bound_ctrl:0
	;;#ASMEND
	;;#ASMSTART
	s_nop 0
	v_add_f32 v104, v104, v104 row_bcast:31 bound_ctrl:0
	;;#ASMEND
	s_and_saveexec_b64 s[36:37], s[0:1]
	s_cbranch_execz .LBB28_157
; %bb.31:                               ;   in Loop: Header=BB28_12 Depth=1
	v_cmp_ne_u32_e32 vcc, 0, v2
	s_and_saveexec_b64 s[8:9], vcc
	s_cbranch_execnz .LBB28_52
; %bb.32:                               ;   in Loop: Header=BB28_12 Depth=1
	s_or_b64 exec, exec, s[8:9]
	v_cmp_ne_u32_e64 s[6:7], 0, v3
	s_and_saveexec_b64 s[10:11], s[6:7]
	s_cbranch_execnz .LBB28_57
.LBB28_33:                              ;   in Loop: Header=BB28_12 Depth=1
	s_or_b64 exec, exec, s[10:11]
	v_cmp_ne_u32_e64 s[8:9], 0, v4
	s_and_saveexec_b64 s[12:13], s[8:9]
	s_cbranch_execnz .LBB28_62
.LBB28_34:                              ;   in Loop: Header=BB28_12 Depth=1
	s_or_b64 exec, exec, s[12:13]
	v_cmp_ne_u32_e64 s[10:11], 0, v5
	s_and_saveexec_b64 s[14:15], s[10:11]
	s_cbranch_execnz .LBB28_67
.LBB28_35:                              ;   in Loop: Header=BB28_12 Depth=1
	s_or_b64 exec, exec, s[14:15]
	v_cmp_ne_u32_e64 s[12:13], 0, v6
	s_and_saveexec_b64 s[16:17], s[12:13]
	s_cbranch_execnz .LBB28_72
.LBB28_36:                              ;   in Loop: Header=BB28_12 Depth=1
	s_or_b64 exec, exec, s[16:17]
	v_cmp_ne_u32_e64 s[14:15], 0, v7
	s_and_saveexec_b64 s[18:19], s[14:15]
	s_cbranch_execnz .LBB28_77
.LBB28_37:                              ;   in Loop: Header=BB28_12 Depth=1
	s_or_b64 exec, exec, s[18:19]
	v_cmp_ne_u32_e64 s[16:17], 0, v8
	s_and_saveexec_b64 s[38:39], s[16:17]
	s_cbranch_execnz .LBB28_82
.LBB28_38:                              ;   in Loop: Header=BB28_12 Depth=1
	s_or_b64 exec, exec, s[38:39]
	v_add_u32_e32 v0, s25, v30
	s_and_saveexec_b64 s[38:39], vcc
	s_cbranch_execnz .LBB28_87
.LBB28_39:                              ;   in Loop: Header=BB28_12 Depth=1
	s_or_b64 exec, exec, s[38:39]
	s_and_saveexec_b64 s[38:39], s[6:7]
	s_cbranch_execnz .LBB28_92
.LBB28_40:                              ;   in Loop: Header=BB28_12 Depth=1
	s_or_b64 exec, exec, s[38:39]
	s_and_saveexec_b64 s[38:39], s[8:9]
	s_cbranch_execnz .LBB28_97
.LBB28_41:                              ;   in Loop: Header=BB28_12 Depth=1
	s_or_b64 exec, exec, s[38:39]
	s_and_saveexec_b64 s[38:39], s[10:11]
	s_cbranch_execnz .LBB28_102
.LBB28_42:                              ;   in Loop: Header=BB28_12 Depth=1
	s_or_b64 exec, exec, s[38:39]
	s_and_saveexec_b64 s[38:39], s[12:13]
	s_cbranch_execnz .LBB28_107
.LBB28_43:                              ;   in Loop: Header=BB28_12 Depth=1
	s_or_b64 exec, exec, s[38:39]
	s_and_saveexec_b64 s[38:39], s[14:15]
	s_cbranch_execnz .LBB28_112
.LBB28_44:                              ;   in Loop: Header=BB28_12 Depth=1
	s_or_b64 exec, exec, s[38:39]
	s_and_saveexec_b64 s[38:39], s[16:17]
	s_cbranch_execnz .LBB28_117
.LBB28_45:                              ;   in Loop: Header=BB28_12 Depth=1
	s_or_b64 exec, exec, s[38:39]
	v_add_u32_e32 v0, s25, v0
	s_and_saveexec_b64 s[18:19], vcc
	s_cbranch_execnz .LBB28_122
.LBB28_46:                              ;   in Loop: Header=BB28_12 Depth=1
	s_or_b64 exec, exec, s[18:19]
	s_and_saveexec_b64 s[18:19], s[6:7]
	s_cbranch_execnz .LBB28_127
.LBB28_47:                              ;   in Loop: Header=BB28_12 Depth=1
	s_or_b64 exec, exec, s[18:19]
	s_and_saveexec_b64 s[6:7], s[8:9]
	s_cbranch_execnz .LBB28_132
.LBB28_48:                              ;   in Loop: Header=BB28_12 Depth=1
	s_or_b64 exec, exec, s[6:7]
	s_and_saveexec_b64 s[6:7], s[10:11]
	s_cbranch_execnz .LBB28_137
.LBB28_49:                              ;   in Loop: Header=BB28_12 Depth=1
	s_or_b64 exec, exec, s[6:7]
	s_and_saveexec_b64 s[6:7], s[12:13]
	s_cbranch_execnz .LBB28_142
.LBB28_50:                              ;   in Loop: Header=BB28_12 Depth=1
	s_or_b64 exec, exec, s[6:7]
	s_and_saveexec_b64 s[6:7], s[14:15]
	s_cbranch_execnz .LBB28_147
.LBB28_51:                              ;   in Loop: Header=BB28_12 Depth=1
	s_or_b64 exec, exec, s[6:7]
	s_and_b64 exec, exec, s[16:17]
	s_cbranch_execnz .LBB28_152
	s_branch .LBB28_157
.LBB28_52:                              ;   in Loop: Header=BB28_12 Depth=1
	v_and_b32_e32 v0, 0x7f800000, v50
	v_cmp_ne_u32_e64 s[6:7], s50, v0
                                        ; implicit-def: $vgpr0
	s_and_saveexec_b64 s[10:11], s[6:7]
	s_xor_b64 s[6:7], exec, s[10:11]
; %bb.53:                               ;   in Loop: Header=BB28_12 Depth=1
	v_bfe_u32 v0, v50, 16, 1
	v_add3_u32 v0, v50, v0, s51
; %bb.54:                               ;   in Loop: Header=BB28_12 Depth=1
	s_andn2_saveexec_b64 s[10:11], s[6:7]
; %bb.55:                               ;   in Loop: Header=BB28_12 Depth=1
	v_or_b32_e32 v0, 0x10000, v50
	v_cmp_eq_u32_sdwa s[6:7], v50, v1 src0_sel:WORD_0 src1_sel:DWORD
	v_cndmask_b32_e64 v0, v0, v50, s[6:7]
; %bb.56:                               ;   in Loop: Header=BB28_12 Depth=1
	s_or_b64 exec, exec, s[10:11]
	v_mov_b32_e32 v31, v1
	v_lshlrev_b64 v[10:11], 1, v[30:31]
	v_mov_b32_e32 v12, s27
	v_add_co_u32_e64 v10, s[6:7], s26, v10
	v_addc_co_u32_e64 v11, s[6:7], v12, v11, s[6:7]
	global_store_short_d16_hi v[10:11], v0, off
	s_or_b64 exec, exec, s[8:9]
	v_cmp_ne_u32_e64 s[6:7], 0, v3
	s_and_saveexec_b64 s[10:11], s[6:7]
	s_cbranch_execz .LBB28_33
.LBB28_57:                              ;   in Loop: Header=BB28_12 Depth=1
	v_and_b32_e32 v0, 0x7f800000, v51
	v_cmp_ne_u32_e64 s[8:9], s50, v0
                                        ; implicit-def: $vgpr0
	s_and_saveexec_b64 s[12:13], s[8:9]
	s_xor_b64 s[8:9], exec, s[12:13]
; %bb.58:                               ;   in Loop: Header=BB28_12 Depth=1
	v_bfe_u32 v0, v51, 16, 1
	v_add3_u32 v0, v51, v0, s51
                                        ; implicit-def: $vgpr51
; %bb.59:                               ;   in Loop: Header=BB28_12 Depth=1
	s_andn2_saveexec_b64 s[12:13], s[8:9]
; %bb.60:                               ;   in Loop: Header=BB28_12 Depth=1
	v_or_b32_e32 v0, 0x10000, v51
	v_cmp_eq_u32_sdwa s[8:9], v51, v1 src0_sel:WORD_0 src1_sel:DWORD
	v_cndmask_b32_e64 v0, v0, v51, s[8:9]
; %bb.61:                               ;   in Loop: Header=BB28_12 Depth=1
	s_or_b64 exec, exec, s[12:13]
	v_mov_b32_e32 v31, v1
	v_lshlrev_b64 v[10:11], 1, v[30:31]
	v_mov_b32_e32 v12, s47
	v_add_co_u32_e64 v10, s[8:9], s46, v10
	v_addc_co_u32_e64 v11, s[8:9], v12, v11, s[8:9]
	global_store_short_d16_hi v[10:11], v0, off
	s_or_b64 exec, exec, s[10:11]
	v_cmp_ne_u32_e64 s[8:9], 0, v4
	s_and_saveexec_b64 s[12:13], s[8:9]
	s_cbranch_execz .LBB28_34
.LBB28_62:                              ;   in Loop: Header=BB28_12 Depth=1
	v_and_b32_e32 v0, 0x7f800000, v48
	v_cmp_ne_u32_e64 s[10:11], s50, v0
                                        ; implicit-def: $vgpr10
	s_and_saveexec_b64 s[14:15], s[10:11]
	s_xor_b64 s[10:11], exec, s[14:15]
; %bb.63:                               ;   in Loop: Header=BB28_12 Depth=1
	v_bfe_u32 v0, v48, 16, 1
	v_add3_u32 v10, v48, v0, s51
; %bb.64:                               ;   in Loop: Header=BB28_12 Depth=1
	s_andn2_saveexec_b64 s[14:15], s[10:11]
; %bb.65:                               ;   in Loop: Header=BB28_12 Depth=1
	v_or_b32_e32 v0, 0x10000, v48
	v_cmp_eq_u32_sdwa s[10:11], v48, v1 src0_sel:WORD_0 src1_sel:DWORD
	v_cndmask_b32_e64 v10, v0, v48, s[10:11]
; %bb.66:                               ;   in Loop: Header=BB28_12 Depth=1
	s_or_b64 exec, exec, s[14:15]
	v_add_u32_e32 v0, 2, v30
	v_lshlrev_b64 v[12:13], 1, v[0:1]
	v_mov_b32_e32 v0, s27
	v_add_co_u32_e64 v12, s[10:11], s26, v12
	v_addc_co_u32_e64 v13, s[10:11], v0, v13, s[10:11]
	global_store_short_d16_hi v[12:13], v10, off
	s_or_b64 exec, exec, s[12:13]
	v_cmp_ne_u32_e64 s[10:11], 0, v5
	s_and_saveexec_b64 s[14:15], s[10:11]
	s_cbranch_execz .LBB28_35
.LBB28_67:                              ;   in Loop: Header=BB28_12 Depth=1
	v_and_b32_e32 v0, 0x7f800000, v49
	v_cmp_ne_u32_e64 s[12:13], s50, v0
                                        ; implicit-def: $vgpr10
	s_and_saveexec_b64 s[16:17], s[12:13]
	s_xor_b64 s[12:13], exec, s[16:17]
; %bb.68:                               ;   in Loop: Header=BB28_12 Depth=1
	v_bfe_u32 v0, v49, 16, 1
	v_add3_u32 v10, v49, v0, s51
                                        ; implicit-def: $vgpr49
; %bb.69:                               ;   in Loop: Header=BB28_12 Depth=1
	s_andn2_saveexec_b64 s[16:17], s[12:13]
; %bb.70:                               ;   in Loop: Header=BB28_12 Depth=1
	v_or_b32_e32 v0, 0x10000, v49
	v_cmp_eq_u32_sdwa s[12:13], v49, v1 src0_sel:WORD_0 src1_sel:DWORD
	v_cndmask_b32_e64 v10, v0, v49, s[12:13]
; %bb.71:                               ;   in Loop: Header=BB28_12 Depth=1
	s_or_b64 exec, exec, s[16:17]
	v_add_u32_e32 v0, 3, v30
	v_lshlrev_b64 v[12:13], 1, v[0:1]
	v_mov_b32_e32 v0, s27
	v_add_co_u32_e64 v12, s[12:13], s26, v12
	v_addc_co_u32_e64 v13, s[12:13], v0, v13, s[12:13]
	global_store_short_d16_hi v[12:13], v10, off
	s_or_b64 exec, exec, s[14:15]
	v_cmp_ne_u32_e64 s[12:13], 0, v6
	s_and_saveexec_b64 s[16:17], s[12:13]
	s_cbranch_execz .LBB28_36
.LBB28_72:                              ;   in Loop: Header=BB28_12 Depth=1
	v_and_b32_e32 v0, 0x7f800000, v46
	v_cmp_ne_u32_e64 s[14:15], s50, v0
                                        ; implicit-def: $vgpr10
	s_and_saveexec_b64 s[18:19], s[14:15]
	s_xor_b64 s[14:15], exec, s[18:19]
; %bb.73:                               ;   in Loop: Header=BB28_12 Depth=1
	v_bfe_u32 v0, v46, 16, 1
	v_add3_u32 v10, v46, v0, s51
; %bb.74:                               ;   in Loop: Header=BB28_12 Depth=1
	s_andn2_saveexec_b64 s[18:19], s[14:15]
; %bb.75:                               ;   in Loop: Header=BB28_12 Depth=1
	v_or_b32_e32 v0, 0x10000, v46
	v_cmp_eq_u32_sdwa s[14:15], v46, v1 src0_sel:WORD_0 src1_sel:DWORD
	v_cndmask_b32_e64 v10, v0, v46, s[14:15]
; %bb.76:                               ;   in Loop: Header=BB28_12 Depth=1
	s_or_b64 exec, exec, s[18:19]
	v_add_u32_e32 v0, 4, v30
	v_lshlrev_b64 v[12:13], 1, v[0:1]
	v_mov_b32_e32 v0, s27
	v_add_co_u32_e64 v12, s[14:15], s26, v12
	v_addc_co_u32_e64 v13, s[14:15], v0, v13, s[14:15]
	global_store_short_d16_hi v[12:13], v10, off
	s_or_b64 exec, exec, s[16:17]
	v_cmp_ne_u32_e64 s[14:15], 0, v7
	s_and_saveexec_b64 s[18:19], s[14:15]
	s_cbranch_execz .LBB28_37
.LBB28_77:                              ;   in Loop: Header=BB28_12 Depth=1
	v_and_b32_e32 v0, 0x7f800000, v47
	v_cmp_ne_u32_e64 s[16:17], s50, v0
                                        ; implicit-def: $vgpr10
	s_and_saveexec_b64 s[38:39], s[16:17]
	s_xor_b64 s[16:17], exec, s[38:39]
; %bb.78:                               ;   in Loop: Header=BB28_12 Depth=1
	v_bfe_u32 v0, v47, 16, 1
	v_add3_u32 v10, v47, v0, s51
                                        ; implicit-def: $vgpr47
; %bb.79:                               ;   in Loop: Header=BB28_12 Depth=1
	s_andn2_saveexec_b64 s[38:39], s[16:17]
; %bb.80:                               ;   in Loop: Header=BB28_12 Depth=1
	v_or_b32_e32 v0, 0x10000, v47
	v_cmp_eq_u32_sdwa s[16:17], v47, v1 src0_sel:WORD_0 src1_sel:DWORD
	v_cndmask_b32_e64 v10, v0, v47, s[16:17]
; %bb.81:                               ;   in Loop: Header=BB28_12 Depth=1
	s_or_b64 exec, exec, s[38:39]
	v_add_u32_e32 v0, 5, v30
	v_lshlrev_b64 v[12:13], 1, v[0:1]
	v_mov_b32_e32 v0, s27
	v_add_co_u32_e64 v12, s[16:17], s26, v12
	v_addc_co_u32_e64 v13, s[16:17], v0, v13, s[16:17]
	global_store_short_d16_hi v[12:13], v10, off
	s_or_b64 exec, exec, s[18:19]
	v_cmp_ne_u32_e64 s[16:17], 0, v8
	s_and_saveexec_b64 s[38:39], s[16:17]
	s_cbranch_execz .LBB28_38
.LBB28_82:                              ;   in Loop: Header=BB28_12 Depth=1
	v_and_b32_e32 v0, 0x7f800000, v44
	v_cmp_ne_u32_e64 s[18:19], s50, v0
                                        ; implicit-def: $vgpr10
	s_and_saveexec_b64 s[40:41], s[18:19]
	s_xor_b64 s[18:19], exec, s[40:41]
; %bb.83:                               ;   in Loop: Header=BB28_12 Depth=1
	v_bfe_u32 v0, v44, 16, 1
	v_add3_u32 v10, v44, v0, s51
; %bb.84:                               ;   in Loop: Header=BB28_12 Depth=1
	s_andn2_saveexec_b64 s[40:41], s[18:19]
; %bb.85:                               ;   in Loop: Header=BB28_12 Depth=1
	v_or_b32_e32 v0, 0x10000, v44
	v_cmp_eq_u32_sdwa s[18:19], v44, v1 src0_sel:WORD_0 src1_sel:DWORD
	v_cndmask_b32_e64 v10, v0, v44, s[18:19]
; %bb.86:                               ;   in Loop: Header=BB28_12 Depth=1
	s_or_b64 exec, exec, s[40:41]
	v_add_u32_e32 v0, 6, v30
	v_lshlrev_b64 v[12:13], 1, v[0:1]
	v_mov_b32_e32 v0, s27
	v_add_co_u32_e64 v12, s[18:19], s26, v12
	v_addc_co_u32_e64 v13, s[18:19], v0, v13, s[18:19]
	global_store_short_d16_hi v[12:13], v10, off
	s_or_b64 exec, exec, s[38:39]
	v_add_u32_e32 v0, s25, v30
	s_and_saveexec_b64 s[38:39], vcc
	s_cbranch_execz .LBB28_39
.LBB28_87:                              ;   in Loop: Header=BB28_12 Depth=1
	v_and_b32_e32 v10, 0x7f800000, v45
	v_cmp_ne_u32_e64 s[18:19], s50, v10
                                        ; implicit-def: $vgpr10
	s_and_saveexec_b64 s[40:41], s[18:19]
	s_xor_b64 s[18:19], exec, s[40:41]
; %bb.88:                               ;   in Loop: Header=BB28_12 Depth=1
	v_bfe_u32 v10, v45, 16, 1
	v_add3_u32 v10, v45, v10, s51
                                        ; implicit-def: $vgpr45
; %bb.89:                               ;   in Loop: Header=BB28_12 Depth=1
	s_andn2_saveexec_b64 s[40:41], s[18:19]
; %bb.90:                               ;   in Loop: Header=BB28_12 Depth=1
	v_or_b32_e32 v10, 0x10000, v45
	v_cmp_eq_u32_sdwa s[18:19], v45, v1 src0_sel:WORD_0 src1_sel:DWORD
	v_cndmask_b32_e64 v10, v10, v45, s[18:19]
; %bb.91:                               ;   in Loop: Header=BB28_12 Depth=1
	s_or_b64 exec, exec, s[40:41]
	v_lshlrev_b64 v[12:13], 1, v[0:1]
	v_mov_b32_e32 v11, s27
	v_add_co_u32_e64 v12, s[18:19], s26, v12
	v_addc_co_u32_e64 v13, s[18:19], v11, v13, s[18:19]
	global_store_short_d16_hi v[12:13], v10, off
	s_or_b64 exec, exec, s[38:39]
	s_and_saveexec_b64 s[38:39], s[6:7]
	s_cbranch_execz .LBB28_40
.LBB28_92:                              ;   in Loop: Header=BB28_12 Depth=1
	v_and_b32_e32 v10, 0x7f800000, v42
	v_cmp_ne_u32_e64 s[18:19], s50, v10
                                        ; implicit-def: $vgpr10
	s_and_saveexec_b64 s[40:41], s[18:19]
	s_xor_b64 s[18:19], exec, s[40:41]
; %bb.93:                               ;   in Loop: Header=BB28_12 Depth=1
	v_bfe_u32 v10, v42, 16, 1
	v_add3_u32 v10, v42, v10, s51
; %bb.94:                               ;   in Loop: Header=BB28_12 Depth=1
	s_andn2_saveexec_b64 s[40:41], s[18:19]
; %bb.95:                               ;   in Loop: Header=BB28_12 Depth=1
	v_or_b32_e32 v10, 0x10000, v42
	v_cmp_eq_u32_sdwa s[18:19], v42, v1 src0_sel:WORD_0 src1_sel:DWORD
	v_cndmask_b32_e64 v10, v10, v42, s[18:19]
; %bb.96:                               ;   in Loop: Header=BB28_12 Depth=1
	s_or_b64 exec, exec, s[40:41]
	v_add_u32_e32 v12, 1, v0
	v_mov_b32_e32 v13, v1
	v_lshlrev_b64 v[12:13], 1, v[12:13]
	v_mov_b32_e32 v11, s27
	v_add_co_u32_e64 v12, s[18:19], s26, v12
	v_addc_co_u32_e64 v13, s[18:19], v11, v13, s[18:19]
	global_store_short_d16_hi v[12:13], v10, off
	s_or_b64 exec, exec, s[38:39]
	s_and_saveexec_b64 s[38:39], s[8:9]
	s_cbranch_execz .LBB28_41
.LBB28_97:                              ;   in Loop: Header=BB28_12 Depth=1
	v_and_b32_e32 v10, 0x7f800000, v43
	v_cmp_ne_u32_e64 s[18:19], s50, v10
                                        ; implicit-def: $vgpr10
	s_and_saveexec_b64 s[40:41], s[18:19]
	s_xor_b64 s[18:19], exec, s[40:41]
; %bb.98:                               ;   in Loop: Header=BB28_12 Depth=1
	v_bfe_u32 v10, v43, 16, 1
	v_add3_u32 v10, v43, v10, s51
                                        ; implicit-def: $vgpr43
; %bb.99:                               ;   in Loop: Header=BB28_12 Depth=1
	s_andn2_saveexec_b64 s[40:41], s[18:19]
; %bb.100:                              ;   in Loop: Header=BB28_12 Depth=1
	v_or_b32_e32 v10, 0x10000, v43
	v_cmp_eq_u32_sdwa s[18:19], v43, v1 src0_sel:WORD_0 src1_sel:DWORD
	v_cndmask_b32_e64 v10, v10, v43, s[18:19]
; %bb.101:                              ;   in Loop: Header=BB28_12 Depth=1
	s_or_b64 exec, exec, s[40:41]
	v_add_u32_e32 v12, 2, v0
	v_mov_b32_e32 v13, v1
	v_lshlrev_b64 v[12:13], 1, v[12:13]
	v_mov_b32_e32 v11, s27
	v_add_co_u32_e64 v12, s[18:19], s26, v12
	v_addc_co_u32_e64 v13, s[18:19], v11, v13, s[18:19]
	global_store_short_d16_hi v[12:13], v10, off
	s_or_b64 exec, exec, s[38:39]
	s_and_saveexec_b64 s[38:39], s[10:11]
	s_cbranch_execz .LBB28_42
.LBB28_102:                             ;   in Loop: Header=BB28_12 Depth=1
	v_and_b32_e32 v10, 0x7f800000, v40
	v_cmp_ne_u32_e64 s[18:19], s50, v10
                                        ; implicit-def: $vgpr10
	s_and_saveexec_b64 s[40:41], s[18:19]
	s_xor_b64 s[18:19], exec, s[40:41]
; %bb.103:                              ;   in Loop: Header=BB28_12 Depth=1
	v_bfe_u32 v10, v40, 16, 1
	v_add3_u32 v10, v40, v10, s51
; %bb.104:                              ;   in Loop: Header=BB28_12 Depth=1
	s_andn2_saveexec_b64 s[40:41], s[18:19]
; %bb.105:                              ;   in Loop: Header=BB28_12 Depth=1
	v_or_b32_e32 v10, 0x10000, v40
	v_cmp_eq_u32_sdwa s[18:19], v40, v1 src0_sel:WORD_0 src1_sel:DWORD
	v_cndmask_b32_e64 v10, v10, v40, s[18:19]
; %bb.106:                              ;   in Loop: Header=BB28_12 Depth=1
	s_or_b64 exec, exec, s[40:41]
	v_add_u32_e32 v12, 3, v0
	v_mov_b32_e32 v13, v1
	v_lshlrev_b64 v[12:13], 1, v[12:13]
	v_mov_b32_e32 v11, s27
	v_add_co_u32_e64 v12, s[18:19], s26, v12
	v_addc_co_u32_e64 v13, s[18:19], v11, v13, s[18:19]
	global_store_short_d16_hi v[12:13], v10, off
	s_or_b64 exec, exec, s[38:39]
	s_and_saveexec_b64 s[38:39], s[12:13]
	s_cbranch_execz .LBB28_43
.LBB28_107:                             ;   in Loop: Header=BB28_12 Depth=1
	v_and_b32_e32 v10, 0x7f800000, v41
	v_cmp_ne_u32_e64 s[18:19], s50, v10
                                        ; implicit-def: $vgpr10
	s_and_saveexec_b64 s[40:41], s[18:19]
	s_xor_b64 s[18:19], exec, s[40:41]
; %bb.108:                              ;   in Loop: Header=BB28_12 Depth=1
	v_bfe_u32 v10, v41, 16, 1
	v_add3_u32 v10, v41, v10, s51
                                        ; implicit-def: $vgpr41
; %bb.109:                              ;   in Loop: Header=BB28_12 Depth=1
	s_andn2_saveexec_b64 s[40:41], s[18:19]
; %bb.110:                              ;   in Loop: Header=BB28_12 Depth=1
	v_or_b32_e32 v10, 0x10000, v41
	v_cmp_eq_u32_sdwa s[18:19], v41, v1 src0_sel:WORD_0 src1_sel:DWORD
	v_cndmask_b32_e64 v10, v10, v41, s[18:19]
; %bb.111:                              ;   in Loop: Header=BB28_12 Depth=1
	s_or_b64 exec, exec, s[40:41]
	v_add_u32_e32 v12, 4, v0
	v_mov_b32_e32 v13, v1
	v_lshlrev_b64 v[12:13], 1, v[12:13]
	v_mov_b32_e32 v11, s27
	v_add_co_u32_e64 v12, s[18:19], s26, v12
	v_addc_co_u32_e64 v13, s[18:19], v11, v13, s[18:19]
	global_store_short_d16_hi v[12:13], v10, off
	s_or_b64 exec, exec, s[38:39]
	s_and_saveexec_b64 s[38:39], s[14:15]
	s_cbranch_execz .LBB28_44
.LBB28_112:                             ;   in Loop: Header=BB28_12 Depth=1
	v_and_b32_e32 v10, 0x7f800000, v38
	v_cmp_ne_u32_e64 s[18:19], s50, v10
                                        ; implicit-def: $vgpr10
	s_and_saveexec_b64 s[40:41], s[18:19]
	s_xor_b64 s[18:19], exec, s[40:41]
; %bb.113:                              ;   in Loop: Header=BB28_12 Depth=1
	v_bfe_u32 v10, v38, 16, 1
	v_add3_u32 v10, v38, v10, s51
; %bb.114:                              ;   in Loop: Header=BB28_12 Depth=1
	s_andn2_saveexec_b64 s[40:41], s[18:19]
; %bb.115:                              ;   in Loop: Header=BB28_12 Depth=1
	v_or_b32_e32 v10, 0x10000, v38
	v_cmp_eq_u32_sdwa s[18:19], v38, v1 src0_sel:WORD_0 src1_sel:DWORD
	v_cndmask_b32_e64 v10, v10, v38, s[18:19]
; %bb.116:                              ;   in Loop: Header=BB28_12 Depth=1
	s_or_b64 exec, exec, s[40:41]
	v_add_u32_e32 v12, 5, v0
	v_mov_b32_e32 v13, v1
	v_lshlrev_b64 v[12:13], 1, v[12:13]
	v_mov_b32_e32 v11, s27
	v_add_co_u32_e64 v12, s[18:19], s26, v12
	v_addc_co_u32_e64 v13, s[18:19], v11, v13, s[18:19]
	global_store_short_d16_hi v[12:13], v10, off
	s_or_b64 exec, exec, s[38:39]
	s_and_saveexec_b64 s[38:39], s[16:17]
	s_cbranch_execz .LBB28_45
.LBB28_117:                             ;   in Loop: Header=BB28_12 Depth=1
	v_and_b32_e32 v10, 0x7f800000, v39
	v_cmp_ne_u32_e64 s[18:19], s50, v10
                                        ; implicit-def: $vgpr10
	s_and_saveexec_b64 s[40:41], s[18:19]
	s_xor_b64 s[18:19], exec, s[40:41]
; %bb.118:                              ;   in Loop: Header=BB28_12 Depth=1
	v_bfe_u32 v10, v39, 16, 1
	v_add3_u32 v10, v39, v10, s51
                                        ; implicit-def: $vgpr39
; %bb.119:                              ;   in Loop: Header=BB28_12 Depth=1
	s_andn2_saveexec_b64 s[40:41], s[18:19]
; %bb.120:                              ;   in Loop: Header=BB28_12 Depth=1
	v_or_b32_e32 v10, 0x10000, v39
	v_cmp_eq_u32_sdwa s[18:19], v39, v1 src0_sel:WORD_0 src1_sel:DWORD
	v_cndmask_b32_e64 v10, v10, v39, s[18:19]
; %bb.121:                              ;   in Loop: Header=BB28_12 Depth=1
	s_or_b64 exec, exec, s[40:41]
	v_add_u32_e32 v12, 6, v0
	v_mov_b32_e32 v13, v1
	v_lshlrev_b64 v[12:13], 1, v[12:13]
	v_mov_b32_e32 v11, s27
	v_add_co_u32_e64 v12, s[18:19], s26, v12
	v_addc_co_u32_e64 v13, s[18:19], v11, v13, s[18:19]
	global_store_short_d16_hi v[12:13], v10, off
	s_or_b64 exec, exec, s[38:39]
	v_add_u32_e32 v0, s25, v0
	s_and_saveexec_b64 s[18:19], vcc
	s_cbranch_execz .LBB28_46
.LBB28_122:                             ;   in Loop: Header=BB28_12 Depth=1
	v_and_b32_e32 v10, 0x7f800000, v36
	v_cmp_ne_u32_e32 vcc, s50, v10
                                        ; implicit-def: $vgpr10
	s_and_saveexec_b64 s[38:39], vcc
	s_xor_b64 s[38:39], exec, s[38:39]
; %bb.123:                              ;   in Loop: Header=BB28_12 Depth=1
	v_bfe_u32 v10, v36, 16, 1
	v_add3_u32 v10, v36, v10, s51
; %bb.124:                              ;   in Loop: Header=BB28_12 Depth=1
	s_andn2_saveexec_b64 s[38:39], s[38:39]
; %bb.125:                              ;   in Loop: Header=BB28_12 Depth=1
	v_or_b32_e32 v10, 0x10000, v36
	v_cmp_eq_u32_sdwa vcc, v36, v1 src0_sel:WORD_0 src1_sel:DWORD
	v_cndmask_b32_e32 v10, v10, v36, vcc
; %bb.126:                              ;   in Loop: Header=BB28_12 Depth=1
	s_or_b64 exec, exec, s[38:39]
	v_lshlrev_b64 v[12:13], 1, v[0:1]
	v_mov_b32_e32 v11, s27
	v_add_co_u32_e32 v12, vcc, s26, v12
	v_addc_co_u32_e32 v13, vcc, v11, v13, vcc
	global_store_short_d16_hi v[12:13], v10, off
	s_or_b64 exec, exec, s[18:19]
	s_and_saveexec_b64 s[18:19], s[6:7]
	s_cbranch_execz .LBB28_47
.LBB28_127:                             ;   in Loop: Header=BB28_12 Depth=1
	v_and_b32_e32 v10, 0x7f800000, v37
	v_cmp_ne_u32_e32 vcc, s50, v10
                                        ; implicit-def: $vgpr10
	s_and_saveexec_b64 s[6:7], vcc
	s_xor_b64 s[6:7], exec, s[6:7]
; %bb.128:                              ;   in Loop: Header=BB28_12 Depth=1
	v_bfe_u32 v10, v37, 16, 1
	v_add3_u32 v10, v37, v10, s51
                                        ; implicit-def: $vgpr37
; %bb.129:                              ;   in Loop: Header=BB28_12 Depth=1
	s_andn2_saveexec_b64 s[6:7], s[6:7]
; %bb.130:                              ;   in Loop: Header=BB28_12 Depth=1
	v_or_b32_e32 v10, 0x10000, v37
	v_cmp_eq_u32_sdwa vcc, v37, v1 src0_sel:WORD_0 src1_sel:DWORD
	v_cndmask_b32_e32 v10, v10, v37, vcc
; %bb.131:                              ;   in Loop: Header=BB28_12 Depth=1
	s_or_b64 exec, exec, s[6:7]
	v_add_u32_e32 v12, 1, v0
	v_mov_b32_e32 v13, v1
	v_lshlrev_b64 v[12:13], 1, v[12:13]
	v_mov_b32_e32 v11, s27
	v_add_co_u32_e32 v12, vcc, s26, v12
	v_addc_co_u32_e32 v13, vcc, v11, v13, vcc
	global_store_short_d16_hi v[12:13], v10, off
	s_or_b64 exec, exec, s[18:19]
	s_and_saveexec_b64 s[6:7], s[8:9]
	s_cbranch_execz .LBB28_48
.LBB28_132:                             ;   in Loop: Header=BB28_12 Depth=1
	v_and_b32_e32 v10, 0x7f800000, v34
	v_cmp_ne_u32_e32 vcc, s50, v10
                                        ; implicit-def: $vgpr10
	s_and_saveexec_b64 s[8:9], vcc
	s_xor_b64 s[8:9], exec, s[8:9]
; %bb.133:                              ;   in Loop: Header=BB28_12 Depth=1
	v_bfe_u32 v10, v34, 16, 1
	v_add3_u32 v10, v34, v10, s51
; %bb.134:                              ;   in Loop: Header=BB28_12 Depth=1
	s_andn2_saveexec_b64 s[8:9], s[8:9]
; %bb.135:                              ;   in Loop: Header=BB28_12 Depth=1
	v_or_b32_e32 v10, 0x10000, v34
	v_cmp_eq_u32_sdwa vcc, v34, v1 src0_sel:WORD_0 src1_sel:DWORD
	v_cndmask_b32_e32 v10, v10, v34, vcc
; %bb.136:                              ;   in Loop: Header=BB28_12 Depth=1
	s_or_b64 exec, exec, s[8:9]
	v_add_u32_e32 v12, 2, v0
	v_mov_b32_e32 v13, v1
	v_lshlrev_b64 v[12:13], 1, v[12:13]
	v_mov_b32_e32 v11, s27
	v_add_co_u32_e32 v12, vcc, s26, v12
	v_addc_co_u32_e32 v13, vcc, v11, v13, vcc
	global_store_short_d16_hi v[12:13], v10, off
	s_or_b64 exec, exec, s[6:7]
	s_and_saveexec_b64 s[6:7], s[10:11]
	s_cbranch_execz .LBB28_49
.LBB28_137:                             ;   in Loop: Header=BB28_12 Depth=1
	v_and_b32_e32 v10, 0x7f800000, v35
	v_cmp_ne_u32_e32 vcc, s50, v10
                                        ; implicit-def: $vgpr10
	s_and_saveexec_b64 s[8:9], vcc
	s_xor_b64 s[8:9], exec, s[8:9]
; %bb.138:                              ;   in Loop: Header=BB28_12 Depth=1
	v_bfe_u32 v10, v35, 16, 1
	v_add3_u32 v10, v35, v10, s51
                                        ; implicit-def: $vgpr35
; %bb.139:                              ;   in Loop: Header=BB28_12 Depth=1
	s_andn2_saveexec_b64 s[8:9], s[8:9]
; %bb.140:                              ;   in Loop: Header=BB28_12 Depth=1
	v_or_b32_e32 v10, 0x10000, v35
	v_cmp_eq_u32_sdwa vcc, v35, v1 src0_sel:WORD_0 src1_sel:DWORD
	v_cndmask_b32_e32 v10, v10, v35, vcc
; %bb.141:                              ;   in Loop: Header=BB28_12 Depth=1
	s_or_b64 exec, exec, s[8:9]
	v_add_u32_e32 v12, 3, v0
	v_mov_b32_e32 v13, v1
	v_lshlrev_b64 v[12:13], 1, v[12:13]
	v_mov_b32_e32 v11, s27
	v_add_co_u32_e32 v12, vcc, s26, v12
	v_addc_co_u32_e32 v13, vcc, v11, v13, vcc
	global_store_short_d16_hi v[12:13], v10, off
	s_or_b64 exec, exec, s[6:7]
	s_and_saveexec_b64 s[6:7], s[12:13]
	s_cbranch_execz .LBB28_50
.LBB28_142:                             ;   in Loop: Header=BB28_12 Depth=1
	v_and_b32_e32 v10, 0x7f800000, v32
	v_cmp_ne_u32_e32 vcc, s50, v10
                                        ; implicit-def: $vgpr10
	s_and_saveexec_b64 s[8:9], vcc
	s_xor_b64 s[8:9], exec, s[8:9]
; %bb.143:                              ;   in Loop: Header=BB28_12 Depth=1
	v_bfe_u32 v10, v32, 16, 1
	v_add3_u32 v10, v32, v10, s51
; %bb.144:                              ;   in Loop: Header=BB28_12 Depth=1
	s_andn2_saveexec_b64 s[8:9], s[8:9]
; %bb.145:                              ;   in Loop: Header=BB28_12 Depth=1
	v_or_b32_e32 v10, 0x10000, v32
	v_cmp_eq_u32_sdwa vcc, v32, v1 src0_sel:WORD_0 src1_sel:DWORD
	v_cndmask_b32_e32 v10, v10, v32, vcc
; %bb.146:                              ;   in Loop: Header=BB28_12 Depth=1
	s_or_b64 exec, exec, s[8:9]
	v_add_u32_e32 v12, 4, v0
	v_mov_b32_e32 v13, v1
	v_lshlrev_b64 v[12:13], 1, v[12:13]
	v_mov_b32_e32 v11, s27
	v_add_co_u32_e32 v12, vcc, s26, v12
	v_addc_co_u32_e32 v13, vcc, v11, v13, vcc
	global_store_short_d16_hi v[12:13], v10, off
	s_or_b64 exec, exec, s[6:7]
	s_and_saveexec_b64 s[6:7], s[14:15]
	s_cbranch_execz .LBB28_51
.LBB28_147:                             ;   in Loop: Header=BB28_12 Depth=1
	v_and_b32_e32 v10, 0x7f800000, v33
	v_cmp_ne_u32_e32 vcc, s50, v10
                                        ; implicit-def: $vgpr10
	s_and_saveexec_b64 s[8:9], vcc
	s_xor_b64 s[8:9], exec, s[8:9]
; %bb.148:                              ;   in Loop: Header=BB28_12 Depth=1
	v_bfe_u32 v10, v33, 16, 1
	v_add3_u32 v10, v33, v10, s51
                                        ; implicit-def: $vgpr33
; %bb.149:                              ;   in Loop: Header=BB28_12 Depth=1
	s_andn2_saveexec_b64 s[8:9], s[8:9]
; %bb.150:                              ;   in Loop: Header=BB28_12 Depth=1
	v_or_b32_e32 v10, 0x10000, v33
	v_cmp_eq_u32_sdwa vcc, v33, v1 src0_sel:WORD_0 src1_sel:DWORD
	v_cndmask_b32_e32 v10, v10, v33, vcc
; %bb.151:                              ;   in Loop: Header=BB28_12 Depth=1
	s_or_b64 exec, exec, s[8:9]
	v_add_u32_e32 v12, 5, v0
	v_mov_b32_e32 v13, v1
	v_lshlrev_b64 v[12:13], 1, v[12:13]
	v_mov_b32_e32 v11, s27
	v_add_co_u32_e32 v12, vcc, s26, v12
	v_addc_co_u32_e32 v13, vcc, v11, v13, vcc
	global_store_short_d16_hi v[12:13], v10, off
	s_or_b64 exec, exec, s[6:7]
	s_and_b64 exec, exec, s[16:17]
	s_cbranch_execz .LBB28_157
.LBB28_152:                             ;   in Loop: Header=BB28_12 Depth=1
	v_and_b32_e32 v10, 0x7f800000, v104
	v_cmp_ne_u32_e32 vcc, s50, v10
                                        ; implicit-def: $vgpr10
	s_and_saveexec_b64 s[6:7], vcc
	s_xor_b64 s[6:7], exec, s[6:7]
; %bb.153:                              ;   in Loop: Header=BB28_12 Depth=1
	v_bfe_u32 v10, v104, 16, 1
	v_add3_u32 v10, v104, v10, s51
                                        ; implicit-def: $vgpr104
; %bb.154:                              ;   in Loop: Header=BB28_12 Depth=1
	s_andn2_saveexec_b64 s[6:7], s[6:7]
; %bb.155:                              ;   in Loop: Header=BB28_12 Depth=1
	v_or_b32_e32 v10, 0x10000, v104
	v_cmp_eq_u32_sdwa vcc, v104, v1 src0_sel:WORD_0 src1_sel:DWORD
	v_cndmask_b32_e32 v10, v10, v104, vcc
; %bb.156:                              ;   in Loop: Header=BB28_12 Depth=1
	s_or_b64 exec, exec, s[6:7]
	v_add_u32_e32 v0, 6, v0
	v_lshlrev_b64 v[12:13], 1, v[0:1]
	v_mov_b32_e32 v0, s27
	v_add_co_u32_e32 v12, vcc, s26, v12
	v_addc_co_u32_e32 v13, vcc, v0, v13, vcc
	global_store_short_d16_hi v[12:13], v10, off
.LBB28_157:                             ;   in Loop: Header=BB28_12 Depth=1
	s_or_b64 exec, exec, s[36:37]
	v_add_u32_e32 v30, s44, v30
	v_add_u32_e32 v0, 7, v30
	v_cmp_gt_u32_e32 vcc, s25, v30
	v_cmp_le_u32_e64 s[6:7], s25, v0
	s_and_b64 s[6:7], vcc, s[6:7]
	s_and_saveexec_b64 s[8:9], s[6:7]
	s_cbranch_execz .LBB28_10
; %bb.158:                              ;   in Loop: Header=BB28_12 Depth=1
	v_cmp_ne_u32_e32 vcc, s45, v30
	s_and_saveexec_b64 s[10:11], vcc
	s_cbranch_execz .LBB28_9
; %bb.159:                              ;   in Loop: Header=BB28_12 Depth=1
	v_subrev_u32_e32 v0, s45, v30
	v_cmp_lt_u32_e32 vcc, 1, v0
	v_cndmask_b32_e32 v0, 1, v0, vcc
	s_mov_b64 s[12:13], 0
	s_mov_b64 s[14:15], 0
.LBB28_160:                             ;   Parent Loop BB28_12 Depth=1
                                        ; =>  This Inner Loop Header: Depth=2
	s_cmp_lg_u32 s14, 6
	s_cselect_b64 vcc, -1, 0
	s_cmp_lg_u32 s14, 5
	v_cndmask_b32_e32 v8, 0, v8, vcc
	s_cselect_b64 vcc, -1, 0
	s_cmp_lg_u32 s14, 4
	v_cndmask_b32_e32 v7, 0, v7, vcc
	;; [unrolled: 3-line block ×6, first 2 shown]
	s_cselect_b64 vcc, -1, 0
	s_add_u32 s14, s14, 1
	s_addc_u32 s15, s15, 0
	v_cmp_eq_u32_e64 s[6:7], s14, v0
	s_or_b64 s[12:13], s[6:7], s[12:13]
	v_cndmask_b32_e32 v2, 0, v2, vcc
	s_andn2_b64 exec, exec, s[12:13]
	s_cbranch_execnz .LBB28_160
; %bb.161:                              ;   in Loop: Header=BB28_12 Depth=1
	s_or_b64 exec, exec, s[12:13]
	s_branch .LBB28_9
.LBB28_162:
	s_endpgm
	.section	.rodata,"a",@progbits
	.p2align	6, 0x0
	.amdhsa_kernel _Z16wvSplitK_hf_big_I14__hip_bfloat16Li64ELi7ELi16ELi8ELi1ELi3EEviiPKT_S3_PS1_ii
		.amdhsa_group_segment_fixed_size 65536
		.amdhsa_private_segment_fixed_size 0
		.amdhsa_kernarg_size 40
		.amdhsa_user_sgpr_count 6
		.amdhsa_user_sgpr_private_segment_buffer 1
		.amdhsa_user_sgpr_dispatch_ptr 0
		.amdhsa_user_sgpr_queue_ptr 0
		.amdhsa_user_sgpr_kernarg_segment_ptr 1
		.amdhsa_user_sgpr_dispatch_id 0
		.amdhsa_user_sgpr_flat_scratch_init 0
		.amdhsa_user_sgpr_kernarg_preload_length 0
		.amdhsa_user_sgpr_kernarg_preload_offset 0
		.amdhsa_user_sgpr_private_segment_size 0
		.amdhsa_uses_dynamic_stack 0
		.amdhsa_system_sgpr_private_segment_wavefront_offset 0
		.amdhsa_system_sgpr_workgroup_id_x 1
		.amdhsa_system_sgpr_workgroup_id_y 0
		.amdhsa_system_sgpr_workgroup_id_z 0
		.amdhsa_system_sgpr_workgroup_info 0
		.amdhsa_system_vgpr_workitem_id 1
		.amdhsa_next_free_vgpr 122
		.amdhsa_next_free_sgpr 52
		.amdhsa_accum_offset 124
		.amdhsa_reserve_vcc 1
		.amdhsa_reserve_flat_scratch 0
		.amdhsa_float_round_mode_32 0
		.amdhsa_float_round_mode_16_64 0
		.amdhsa_float_denorm_mode_32 3
		.amdhsa_float_denorm_mode_16_64 3
		.amdhsa_dx10_clamp 1
		.amdhsa_ieee_mode 1
		.amdhsa_fp16_overflow 0
		.amdhsa_tg_split 0
		.amdhsa_exception_fp_ieee_invalid_op 0
		.amdhsa_exception_fp_denorm_src 0
		.amdhsa_exception_fp_ieee_div_zero 0
		.amdhsa_exception_fp_ieee_overflow 0
		.amdhsa_exception_fp_ieee_underflow 0
		.amdhsa_exception_fp_ieee_inexact 0
		.amdhsa_exception_int_div_zero 0
	.end_amdhsa_kernel
	.section	.text._Z16wvSplitK_hf_big_I14__hip_bfloat16Li64ELi7ELi16ELi8ELi1ELi3EEviiPKT_S3_PS1_ii,"axG",@progbits,_Z16wvSplitK_hf_big_I14__hip_bfloat16Li64ELi7ELi16ELi8ELi1ELi3EEviiPKT_S3_PS1_ii,comdat
.Lfunc_end28:
	.size	_Z16wvSplitK_hf_big_I14__hip_bfloat16Li64ELi7ELi16ELi8ELi1ELi3EEviiPKT_S3_PS1_ii, .Lfunc_end28-_Z16wvSplitK_hf_big_I14__hip_bfloat16Li64ELi7ELi16ELi8ELi1ELi3EEviiPKT_S3_PS1_ii
                                        ; -- End function
	.section	.AMDGPU.csdata,"",@progbits
; Kernel info:
; codeLenInByte = 8980
; NumSgprs: 56
; NumVgprs: 122
; NumAgprs: 0
; TotalNumVgprs: 122
; ScratchSize: 0
; MemoryBound: 0
; FloatMode: 240
; IeeeMode: 1
; LDSByteSize: 65536 bytes/workgroup (compile time only)
; SGPRBlocks: 6
; VGPRBlocks: 15
; NumSGPRsForWavesPerEU: 56
; NumVGPRsForWavesPerEU: 122
; AccumOffset: 124
; Occupancy: 4
; WaveLimiterHint : 0
; COMPUTE_PGM_RSRC2:SCRATCH_EN: 0
; COMPUTE_PGM_RSRC2:USER_SGPR: 6
; COMPUTE_PGM_RSRC2:TRAP_HANDLER: 0
; COMPUTE_PGM_RSRC2:TGID_X_EN: 1
; COMPUTE_PGM_RSRC2:TGID_Y_EN: 0
; COMPUTE_PGM_RSRC2:TGID_Z_EN: 0
; COMPUTE_PGM_RSRC2:TIDIG_COMP_CNT: 1
; COMPUTE_PGM_RSRC3_GFX90A:ACCUM_OFFSET: 30
; COMPUTE_PGM_RSRC3_GFX90A:TG_SPLIT: 0
	.section	.text._Z16wvSplitK_hf_sml_I14__hip_bfloat16Li64ELi4ELi16ELi8ELi1ELi4EEviiPKT_S3_PS1_ii,"axG",@progbits,_Z16wvSplitK_hf_sml_I14__hip_bfloat16Li64ELi4ELi16ELi8ELi1ELi4EEviiPKT_S3_PS1_ii,comdat
	.protected	_Z16wvSplitK_hf_sml_I14__hip_bfloat16Li64ELi4ELi16ELi8ELi1ELi4EEviiPKT_S3_PS1_ii ; -- Begin function _Z16wvSplitK_hf_sml_I14__hip_bfloat16Li64ELi4ELi16ELi8ELi1ELi4EEviiPKT_S3_PS1_ii
	.globl	_Z16wvSplitK_hf_sml_I14__hip_bfloat16Li64ELi4ELi16ELi8ELi1ELi4EEviiPKT_S3_PS1_ii
	.p2align	8
	.type	_Z16wvSplitK_hf_sml_I14__hip_bfloat16Li64ELi4ELi16ELi8ELi1ELi4EEviiPKT_S3_PS1_ii,@function
_Z16wvSplitK_hf_sml_I14__hip_bfloat16Li64ELi4ELi16ELi8ELi1ELi4EEviiPKT_S3_PS1_ii: ; @_Z16wvSplitK_hf_sml_I14__hip_bfloat16Li64ELi4ELi16ELi8ELi1ELi4EEviiPKT_S3_PS1_ii
; %bb.0:
	s_load_dwordx2 s[8:9], s[4:5], 0x0
	v_and_b32_e32 v2, 0x3ff, v0
	v_bfe_u32 v3, v0, 10, 10
	v_lshlrev_b32_e32 v54, 3, v2
	s_mov_b32 s7, 0
	s_waitcnt lgkmcnt(0)
	s_lshl_b32 s18, s8, 2
	s_cmp_lg_u32 s8, 0
	s_cselect_b64 s[2:3], -1, 0
	s_cmp_eq_u32 s8, 0
	s_cbranch_scc1 .LBB29_6
; %bb.1:
	s_load_dwordx2 s[0:1], s[4:5], 0x10
	v_lshlrev_b32_e32 v0, 4, v2
	s_min_i32 s16, s18, 0x8000
	v_lshl_add_u32 v4, v3, 10, v0
	v_lshl_add_u32 v5, v3, 9, v54
	s_mov_b64 s[10:11], 0
	v_mov_b32_e32 v1, 0
                                        ; implicit-def: $sgpr12_sgpr13
	s_branch .LBB29_3
.LBB29_2:                               ;   in Loop: Header=BB29_3 Depth=1
	s_or_b64 exec, exec, s[14:15]
	s_and_b64 s[14:15], exec, s[12:13]
	s_or_b64 s[10:11], s[14:15], s[10:11]
	s_andn2_b64 exec, exec, s[10:11]
	s_cbranch_execz .LBB29_5
.LBB29_3:                               ; =>This Inner Loop Header: Depth=1
	v_add_u32_e32 v0, s7, v5
	v_cmp_gt_u32_e32 vcc, s16, v0
	s_or_b64 s[12:13], s[12:13], exec
	s_and_saveexec_b64 s[14:15], vcc
	s_cbranch_execz .LBB29_2
; %bb.4:                                ;   in Loop: Header=BB29_3 Depth=1
	v_lshlrev_b64 v[6:7], 1, v[0:1]
	s_waitcnt lgkmcnt(0)
	v_mov_b32_e32 v0, s1
	v_add_co_u32_e32 v6, vcc, s0, v6
	v_addc_co_u32_e32 v7, vcc, v0, v7, vcc
	global_load_dwordx4 v[6:9], v[6:7], off
	s_addk_i32 s7, 0x2000
	s_cmp_ge_u32 s7, s16
	s_cselect_b64 s[20:21], -1, 0
	s_andn2_b64 s[12:13], s[12:13], exec
	s_and_b64 s[20:21], s[20:21], exec
	s_or_b64 s[12:13], s[12:13], s[20:21]
	s_waitcnt vmcnt(0)
	ds_write_b128 v4, v[6:9]
	v_add_u32_e32 v4, 0x4000, v4
	s_branch .LBB29_2
.LBB29_5:
	s_or_b64 exec, exec, s[10:11]
.LBB29_6:
	s_waitcnt lgkmcnt(0)
	s_load_dwordx2 s[0:1], s[4:5], 0x20
	s_waitcnt lgkmcnt(0)
	s_barrier
	v_cmp_gt_u32_e32 vcc, s0, v3
	s_and_saveexec_b64 s[10:11], vcc
	s_cbranch_execz .LBB29_81
; %bb.7:
	s_mul_i32 s6, s6, s0
	v_add_u32_e32 v0, s6, v3
	v_lshlrev_b32_e32 v4, 2, v0
	v_cmp_gt_u32_e32 vcc, s9, v4
	s_and_b64 exec, exec, vcc
	s_cbranch_execz .LBB29_81
; %bb.8:
	s_load_dwordx2 s[6:7], s[4:5], 0x8
	s_load_dwordx2 s[10:11], s[4:5], 0x18
	s_mul_i32 s12, s0, s1
	v_mul_lo_u32 v0, s8, v0
	s_lshl_b32 s19, s12, 2
	s_ashr_i32 s5, s8, 31
	s_mov_b32 s4, s8
	v_lshl_add_u32 v56, v0, 2, v54
	s_mul_i32 s12, s12, s8
	v_cndmask_b32_e64 v0, 0, 1, s[2:3]
	v_cmp_eq_u32_e64 s[0:1], 63, v2
	s_lshl_b64 s[4:5], s[4:5], 1
	s_mul_i32 s20, s8, 6
	v_lshlrev_b32_e32 v55, 4, v2
	s_lshl_b32 s21, s8, 1
	s_lshl_b32 s22, s12, 2
	s_mov_b64 s[12:13], 0
	v_cmp_ne_u32_e64 s[2:3], 1, v0
	v_mov_b32_e32 v7, 0
	s_mov_b32 s23, 0x7f800000
	s_movk_i32 s24, 0x7fff
	s_branch .LBB29_11
.LBB29_9:                               ;   in Loop: Header=BB29_11 Depth=1
	s_or_b64 exec, exec, s[16:17]
	v_add_u32_e32 v6, 3, v6
	v_lshlrev_b64 v[2:3], 1, v[6:7]
	v_mov_b32_e32 v1, s11
	v_add_co_u32_e32 v2, vcc, s10, v2
	v_addc_co_u32_e32 v3, vcc, v1, v3, vcc
	global_store_short_d16_hi v[2:3], v0, off
.LBB29_10:                              ;   in Loop: Header=BB29_11 Depth=1
	s_or_b64 exec, exec, s[14:15]
	v_add_u32_e32 v4, s19, v4
	v_cmp_le_u32_e32 vcc, s9, v4
	s_or_b64 s[12:13], vcc, s[12:13]
	v_add_u32_e32 v56, s22, v56
	s_andn2_b64 exec, exec, s[12:13]
	s_cbranch_execz .LBB29_81
.LBB29_11:                              ; =>This Loop Header: Depth=1
                                        ;     Child Loop BB29_14 Depth 2
	s_and_b64 vcc, exec, s[2:3]
	v_mov_b32_e32 v9, v7
	v_mov_b32_e32 v8, v7
	;; [unrolled: 1-line block ×16, first 2 shown]
	s_cbranch_vccnz .LBB29_16
; %bb.12:                               ;   in Loop: Header=BB29_11 Depth=1
	v_mov_b32_e32 v22, 0
	s_mov_b32 s16, 0
	v_mov_b32_e32 v5, v55
	v_mov_b32_e32 v23, v22
	;; [unrolled: 1-line block ×16, first 2 shown]
	s_branch .LBB29_14
.LBB29_13:                              ;   in Loop: Header=BB29_14 Depth=2
	s_or_b64 exec, exec, s[14:15]
	s_addk_i32 s16, 0x200
	s_cmp_ge_u32 s16, s8
	v_add_u32_e32 v5, 0x400, v5
	s_cbranch_scc1 .LBB29_16
.LBB29_14:                              ;   Parent Loop BB29_11 Depth=1
                                        ; =>  This Inner Loop Header: Depth=2
	v_add_u32_e32 v0, s16, v54
	v_cmp_gt_u32_e32 vcc, s8, v0
	s_and_saveexec_b64 s[14:15], vcc
	s_cbranch_execz .LBB29_13
; %bb.15:                               ;   in Loop: Header=BB29_14 Depth=2
	v_add_u32_e32 v6, s16, v56
	v_lshlrev_b64 v[0:1], 1, v[6:7]
	s_waitcnt lgkmcnt(0)
	v_mov_b32_e32 v2, s7
	v_add_co_u32_e32 v0, vcc, s6, v0
	v_addc_co_u32_e32 v1, vcc, v2, v1, vcc
	global_load_dwordx4 v[34:37], v[0:1], off glc slc
	v_mov_b32_e32 v2, s5
	v_add_co_u32_e32 v0, vcc, s4, v0
	v_addc_co_u32_e32 v1, vcc, v1, v2, vcc
	global_load_dwordx4 v[38:41], v[0:1], off glc slc
	v_add_co_u32_e32 v0, vcc, s4, v0
	v_addc_co_u32_e32 v1, vcc, v1, v2, vcc
	global_load_dwordx4 v[46:49], v[0:1], off glc slc
	;; [unrolled: 3-line block ×3, first 2 shown]
	ds_read_b128 v[24:27], v5
	v_add_u32_e32 v86, s21, v5
	v_add_u32_e32 v57, s18, v5
	;; [unrolled: 1-line block ×3, first 2 shown]
	s_waitcnt lgkmcnt(0)
	v_and_b32_e32 v51, 0xffff0000, v24
	v_lshlrev_b32_e32 v50, 16, v24
	v_and_b32_e32 v53, 0xffff0000, v25
	v_lshlrev_b32_e32 v52, 16, v25
	;; [unrolled: 2-line block ×4, first 2 shown]
	s_waitcnt vmcnt(3)
	v_and_b32_e32 v33, 0xffff0000, v34
	v_lshlrev_b32_e32 v32, 16, v34
	v_and_b32_e32 v29, 0xffff0000, v35
	v_lshlrev_b32_e32 v28, 16, v35
	v_pk_mul_f32 v[62:63], v[50:51], v[32:33]
	v_and_b32_e32 v27, 0xffff0000, v36
	s_waitcnt vmcnt(2)
	v_and_b32_e32 v31, 0xffff0000, v38
	v_lshlrev_b32_e32 v30, 16, v38
	v_and_b32_e32 v35, 0xffff0000, v39
	v_lshlrev_b32_e32 v34, 16, v39
	v_pk_mul_f32 v[70:71], v[50:51], v[30:31]
	v_lshlrev_b32_e32 v26, 16, v36
	v_and_b32_e32 v25, 0xffff0000, v37
	v_lshlrev_b32_e32 v24, 16, v37
	v_pk_mul_f32 v[64:65], v[52:53], v[28:29]
	v_and_b32_e32 v37, 0xffff0000, v40
	v_lshlrev_b32_e32 v36, 16, v40
	v_pk_mul_f32 v[72:73], v[52:53], v[34:35]
	v_mov_b32_e32 v78, v62
	v_mov_b32_e32 v79, v70
	;; [unrolled: 1-line block ×3, first 2 shown]
	v_pk_mul_f32 v[66:67], v[58:59], v[26:27]
	v_and_b32_e32 v39, 0xffff0000, v41
	v_lshlrev_b32_e32 v38, 16, v41
	v_pk_mul_f32 v[74:75], v[58:59], v[36:37]
	v_mov_b32_e32 v62, v64
	s_waitcnt vmcnt(1)
	v_and_b32_e32 v41, 0xffff0000, v46
	v_lshlrev_b32_e32 v40, 16, v46
	v_and_b32_e32 v43, 0xffff0000, v47
	v_lshlrev_b32_e32 v42, 16, v47
	;; [unrolled: 2-line block ×4, first 2 shown]
	v_mov_b32_e32 v63, v72
	v_mov_b32_e32 v72, v65
	v_pk_add_f32 v[48:49], v[78:79], v[70:71]
	v_pk_mul_f32 v[68:69], v[60:61], v[24:25]
	v_pk_mul_f32 v[76:77], v[60:61], v[38:39]
	v_mov_b32_e32 v64, v66
	v_mov_b32_e32 v65, v74
	;; [unrolled: 1-line block ×3, first 2 shown]
	v_pk_add_f32 v[62:63], v[62:63], v[72:73]
	v_pk_add_f32 v[22:23], v[22:23], v[48:49]
	s_waitcnt vmcnt(0)
	v_and_b32_e32 v49, 0xffff0000, v0
	v_lshlrev_b32_e32 v48, 16, v0
	v_mov_b32_e32 v66, v68
	v_mov_b32_e32 v67, v76
	;; [unrolled: 1-line block ×3, first 2 shown]
	v_pk_mul_f32 v[68:69], v[50:51], v[40:41]
	v_pk_add_f32 v[64:65], v[64:65], v[74:75]
	v_pk_add_f32 v[22:23], v[22:23], v[62:63]
	v_pk_mul_f32 v[62:63], v[50:51], v[48:49]
	v_and_b32_e32 v51, 0xffff0000, v1
	v_lshlrev_b32_e32 v50, 16, v1
	v_pk_mul_f32 v[80:81], v[52:53], v[42:43]
	v_pk_add_f32 v[22:23], v[22:23], v[64:65]
	v_pk_mul_f32 v[64:65], v[52:53], v[50:51]
	v_and_b32_e32 v53, 0xffff0000, v3
	v_lshlrev_b32_e32 v52, 16, v3
	v_pk_mul_f32 v[84:85], v[60:61], v[46:47]
	v_and_b32_e32 v1, 0xffff0000, v2
	v_lshlrev_b32_e32 v0, 16, v2
	v_pk_mul_f32 v[2:3], v[60:61], v[52:53]
	v_mov_b32_e32 v60, v68
	v_mov_b32_e32 v61, v62
	;; [unrolled: 1-line block ×3, first 2 shown]
	v_pk_add_f32 v[60:61], v[60:61], v[62:63]
	v_pk_add_f32 v[20:21], v[20:21], v[60:61]
	v_mov_b32_e32 v60, v80
	v_mov_b32_e32 v61, v64
	;; [unrolled: 1-line block ×3, first 2 shown]
	v_pk_mul_f32 v[82:83], v[58:59], v[44:45]
	v_pk_mul_f32 v[58:59], v[58:59], v[0:1]
	v_pk_add_f32 v[60:61], v[60:61], v[64:65]
	v_pk_add_f32 v[20:21], v[20:21], v[60:61]
	v_mov_b32_e32 v60, v82
	v_mov_b32_e32 v61, v58
	v_mov_b32_e32 v58, v83
	v_pk_add_f32 v[58:59], v[60:61], v[58:59]
	v_pk_add_f32 v[20:21], v[20:21], v[58:59]
	ds_read_b128 v[58:61], v86
	v_mov_b32_e32 v62, v84
	v_mov_b32_e32 v63, v2
	v_mov_b32_e32 v2, v85
	v_pk_add_f32 v[2:3], v[62:63], v[2:3]
	s_waitcnt lgkmcnt(0)
	v_and_b32_e32 v63, 0xffff0000, v58
	v_lshlrev_b32_e32 v62, 16, v58
	v_pk_add_f32 v[66:67], v[66:67], v[76:77]
	v_pk_mul_f32 v[64:65], v[62:63], v[32:33]
	v_pk_mul_f32 v[74:75], v[62:63], v[30:31]
	v_pk_add_f32 v[22:23], v[22:23], v[66:67]
	v_and_b32_e32 v67, 0xffff0000, v59
	v_lshlrev_b32_e32 v66, 16, v59
	v_mov_b32_e32 v82, v64
	v_mov_b32_e32 v83, v74
	;; [unrolled: 1-line block ×3, first 2 shown]
	v_pk_mul_f32 v[58:59], v[66:67], v[28:29]
	v_pk_mul_f32 v[76:77], v[66:67], v[34:35]
	v_pk_add_f32 v[64:65], v[82:83], v[74:75]
	v_and_b32_e32 v69, 0xffff0000, v60
	v_lshlrev_b32_e32 v68, 16, v60
	v_pk_add_f32 v[18:19], v[18:19], v[64:65]
	v_mov_b32_e32 v64, v58
	v_mov_b32_e32 v65, v76
	;; [unrolled: 1-line block ×3, first 2 shown]
	v_pk_mul_f32 v[70:71], v[68:69], v[26:27]
	v_pk_mul_f32 v[78:79], v[68:69], v[36:37]
	v_pk_add_f32 v[58:59], v[64:65], v[76:77]
	v_and_b32_e32 v73, 0xffff0000, v61
	v_lshlrev_b32_e32 v72, 16, v61
	v_pk_add_f32 v[18:19], v[18:19], v[58:59]
	v_mov_b32_e32 v58, v70
	v_mov_b32_e32 v59, v78
	;; [unrolled: 1-line block ×3, first 2 shown]
	v_pk_mul_f32 v[60:61], v[72:73], v[24:25]
	v_pk_mul_f32 v[80:81], v[72:73], v[38:39]
	v_pk_add_f32 v[58:59], v[58:59], v[78:79]
	v_pk_add_f32 v[18:19], v[18:19], v[58:59]
	v_mov_b32_e32 v58, v60
	v_mov_b32_e32 v59, v80
	;; [unrolled: 1-line block ×3, first 2 shown]
	v_pk_add_f32 v[58:59], v[58:59], v[80:81]
	v_pk_add_f32 v[18:19], v[18:19], v[58:59]
	v_pk_mul_f32 v[58:59], v[62:63], v[40:41]
	v_pk_mul_f32 v[62:63], v[62:63], v[48:49]
	v_mov_b32_e32 v74, v58
	v_mov_b32_e32 v75, v62
	;; [unrolled: 1-line block ×3, first 2 shown]
	v_pk_mul_f32 v[60:61], v[66:67], v[42:43]
	v_pk_mul_f32 v[66:67], v[66:67], v[50:51]
	v_pk_add_f32 v[58:59], v[74:75], v[62:63]
	v_pk_add_f32 v[16:17], v[16:17], v[58:59]
	v_mov_b32_e32 v58, v60
	v_mov_b32_e32 v59, v66
	v_mov_b32_e32 v66, v61
	v_pk_add_f32 v[20:21], v[20:21], v[2:3]
	ds_read2_b32 v[2:3], v57 offset1:1
	v_pk_mul_f32 v[64:65], v[68:69], v[44:45]
	v_pk_mul_f32 v[68:69], v[68:69], v[0:1]
	v_pk_add_f32 v[58:59], v[58:59], v[66:67]
	v_pk_add_f32 v[16:17], v[16:17], v[58:59]
	v_mov_b32_e32 v58, v64
	v_mov_b32_e32 v59, v68
	;; [unrolled: 1-line block ×3, first 2 shown]
	v_pk_mul_f32 v[70:71], v[72:73], v[46:47]
	v_pk_mul_f32 v[72:73], v[72:73], v[52:53]
	v_pk_add_f32 v[58:59], v[58:59], v[68:69]
	v_pk_add_f32 v[16:17], v[16:17], v[58:59]
	v_mov_b32_e32 v58, v70
	v_mov_b32_e32 v59, v72
	;; [unrolled: 1-line block ×3, first 2 shown]
	v_pk_add_f32 v[58:59], v[58:59], v[72:73]
	ds_read2_b32 v[66:67], v57 offset0:2 offset1:3
	v_pk_add_f32 v[16:17], v[16:17], v[58:59]
	ds_read_b128 v[58:61], v6
	s_waitcnt lgkmcnt(2)
	v_and_b32_e32 v63, 0xffff0000, v2
	v_lshlrev_b32_e32 v62, 16, v2
	v_pk_mul_f32 v[64:65], v[62:63], v[32:33]
	v_pk_mul_f32 v[76:77], v[62:63], v[30:31]
	v_and_b32_e32 v69, 0xffff0000, v3
	v_lshlrev_b32_e32 v68, 16, v3
	v_mov_b32_e32 v84, v64
	v_mov_b32_e32 v85, v76
	;; [unrolled: 1-line block ×3, first 2 shown]
	v_pk_mul_f32 v[2:3], v[68:69], v[28:29]
	v_pk_mul_f32 v[78:79], v[68:69], v[34:35]
	v_pk_add_f32 v[64:65], v[84:85], v[76:77]
	s_waitcnt lgkmcnt(1)
	v_and_b32_e32 v71, 0xffff0000, v66
	v_lshlrev_b32_e32 v70, 16, v66
	v_pk_add_f32 v[14:15], v[14:15], v[64:65]
	v_mov_b32_e32 v64, v2
	v_mov_b32_e32 v65, v78
	v_mov_b32_e32 v78, v3
	v_pk_mul_f32 v[72:73], v[70:71], v[26:27]
	v_pk_mul_f32 v[80:81], v[70:71], v[36:37]
	v_pk_add_f32 v[2:3], v[64:65], v[78:79]
	v_and_b32_e32 v75, 0xffff0000, v67
	v_lshlrev_b32_e32 v74, 16, v67
	v_pk_add_f32 v[2:3], v[14:15], v[2:3]
	v_mov_b32_e32 v14, v72
	v_mov_b32_e32 v15, v80
	;; [unrolled: 1-line block ×3, first 2 shown]
	v_pk_mul_f32 v[66:67], v[74:75], v[24:25]
	v_pk_mul_f32 v[82:83], v[74:75], v[38:39]
	v_pk_add_f32 v[14:15], v[14:15], v[80:81]
	v_pk_add_f32 v[2:3], v[2:3], v[14:15]
	v_mov_b32_e32 v14, v66
	v_mov_b32_e32 v15, v82
	;; [unrolled: 1-line block ×3, first 2 shown]
	v_pk_add_f32 v[14:15], v[14:15], v[82:83]
	v_pk_add_f32 v[14:15], v[2:3], v[14:15]
	v_pk_mul_f32 v[2:3], v[62:63], v[40:41]
	v_pk_mul_f32 v[62:63], v[62:63], v[48:49]
	v_mov_b32_e32 v76, v2
	v_mov_b32_e32 v77, v62
	v_mov_b32_e32 v62, v3
	v_pk_mul_f32 v[64:65], v[68:69], v[42:43]
	v_pk_mul_f32 v[68:69], v[68:69], v[50:51]
	v_pk_add_f32 v[2:3], v[76:77], v[62:63]
	v_pk_add_f32 v[2:3], v[12:13], v[2:3]
	v_mov_b32_e32 v12, v64
	v_mov_b32_e32 v13, v68
	v_mov_b32_e32 v68, v65
	v_pk_mul_f32 v[66:67], v[70:71], v[44:45]
	v_pk_mul_f32 v[70:71], v[70:71], v[0:1]
	v_pk_add_f32 v[12:13], v[12:13], v[68:69]
	v_pk_add_f32 v[2:3], v[2:3], v[12:13]
	;; [unrolled: 7-line block ×3, first 2 shown]
	v_mov_b32_e32 v12, v72
	v_mov_b32_e32 v13, v74
	;; [unrolled: 1-line block ×3, first 2 shown]
	v_pk_add_f32 v[12:13], v[12:13], v[74:75]
	v_pk_add_f32 v[12:13], v[2:3], v[12:13]
	s_waitcnt lgkmcnt(0)
	v_and_b32_e32 v3, 0xffff0000, v58
	v_lshlrev_b32_e32 v2, 16, v58
	v_pk_mul_f32 v[32:33], v[2:3], v[32:33]
	v_pk_mul_f32 v[30:31], v[2:3], v[30:31]
	v_and_b32_e32 v63, 0xffff0000, v59
	v_lshlrev_b32_e32 v62, 16, v59
	v_and_b32_e32 v59, 0xffff0000, v60
	v_lshlrev_b32_e32 v58, 16, v60
	;; [unrolled: 2-line block ×3, first 2 shown]
	v_mov_b32_e32 v60, v32
	v_mov_b32_e32 v61, v30
	v_mov_b32_e32 v30, v33
	v_pk_mul_f32 v[28:29], v[62:63], v[28:29]
	v_pk_mul_f32 v[34:35], v[62:63], v[34:35]
	v_pk_add_f32 v[30:31], v[60:61], v[30:31]
	v_pk_add_f32 v[10:11], v[10:11], v[30:31]
	v_mov_b32_e32 v30, v28
	v_mov_b32_e32 v31, v34
	v_mov_b32_e32 v34, v29
	v_pk_mul_f32 v[26:27], v[58:59], v[26:27]
	v_pk_mul_f32 v[36:37], v[58:59], v[36:37]
	v_pk_add_f32 v[28:29], v[30:31], v[34:35]
	v_pk_add_f32 v[10:11], v[10:11], v[28:29]
	;; [unrolled: 7-line block ×3, first 2 shown]
	v_mov_b32_e32 v26, v24
	v_mov_b32_e32 v27, v38
	;; [unrolled: 1-line block ×3, first 2 shown]
	v_pk_add_f32 v[24:25], v[26:27], v[38:39]
	v_pk_add_f32 v[10:11], v[10:11], v[24:25]
	v_pk_mul_f32 v[24:25], v[2:3], v[40:41]
	v_pk_mul_f32 v[2:3], v[2:3], v[48:49]
	v_mov_b32_e32 v36, v24
	v_mov_b32_e32 v37, v2
	v_mov_b32_e32 v2, v25
	v_pk_mul_f32 v[26:27], v[62:63], v[42:43]
	v_pk_mul_f32 v[32:33], v[62:63], v[50:51]
	v_pk_add_f32 v[2:3], v[36:37], v[2:3]
	v_pk_add_f32 v[2:3], v[8:9], v[2:3]
	v_mov_b32_e32 v8, v26
	v_mov_b32_e32 v9, v32
	v_mov_b32_e32 v32, v27
	v_pk_mul_f32 v[28:29], v[58:59], v[44:45]
	v_pk_mul_f32 v[0:1], v[58:59], v[0:1]
	v_pk_add_f32 v[8:9], v[8:9], v[32:33]
	v_pk_add_f32 v[2:3], v[2:3], v[8:9]
	;; [unrolled: 7-line block ×3, first 2 shown]
	v_mov_b32_e32 v2, v30
	v_mov_b32_e32 v3, v34
	;; [unrolled: 1-line block ×3, first 2 shown]
	v_pk_add_f32 v[2:3], v[2:3], v[34:35]
	v_pk_add_f32 v[8:9], v[0:1], v[2:3]
	s_branch .LBB29_13
.LBB29_16:                              ;   in Loop: Header=BB29_11 Depth=1
	;;#ASMSTART
	s_nop 0
	v_add_f32 v22, v22, v22 row_shr:8 bound_ctrl:0 
	;;#ASMEND
	;;#ASMSTART
	s_nop 0
	v_add_f32 v23, v23, v23 row_shr:8 bound_ctrl:0 
	;;#ASMEND
	;; [unrolled: 4-line block ×48, first 2 shown]
	;;#ASMSTART
	s_nop 0
	v_add_f32 v22, v22, v22 wave_shr:1 bound_ctrl:0
	;;#ASMEND
	;;#ASMSTART
	s_nop 0
	v_add_f32 v23, v23, v23 wave_shr:1 bound_ctrl:0
	;;#ASMEND
	;; [unrolled: 4-line block ×16, first 2 shown]
	;;#ASMSTART
	s_nop 0
	v_add_f32 v22, v22, v22 row_bcast:15 bound_ctrl:0
	;;#ASMEND
	;;#ASMSTART
	s_nop 0
	v_add_f32 v23, v23, v23 row_bcast:15 bound_ctrl:0
	;;#ASMEND
	;; [unrolled: 4-line block ×32, first 2 shown]
	s_and_saveexec_b64 s[14:15], s[0:1]
	s_cbranch_execz .LBB29_10
; %bb.17:                               ;   in Loop: Header=BB29_11 Depth=1
	v_and_b32_e32 v0, 0x7f800000, v22
	v_cmp_ne_u32_e32 vcc, s23, v0
                                        ; implicit-def: $vgpr2
	s_and_saveexec_b64 s[16:17], vcc
	s_xor_b64 s[16:17], exec, s[16:17]
; %bb.18:                               ;   in Loop: Header=BB29_11 Depth=1
	v_bfe_u32 v0, v22, 16, 1
	v_add3_u32 v2, v22, v0, s24
; %bb.19:                               ;   in Loop: Header=BB29_11 Depth=1
	s_andn2_saveexec_b64 s[16:17], s[16:17]
; %bb.20:                               ;   in Loop: Header=BB29_11 Depth=1
	v_or_b32_e32 v0, 0x10000, v22
	v_cmp_eq_u32_sdwa vcc, v22, v7 src0_sel:WORD_0 src1_sel:DWORD
	v_cndmask_b32_e32 v2, v0, v22, vcc
; %bb.21:                               ;   in Loop: Header=BB29_11 Depth=1
	s_or_b64 exec, exec, s[16:17]
	v_mov_b32_e32 v5, v7
	v_lshlrev_b64 v[0:1], 1, v[4:5]
	s_waitcnt lgkmcnt(0)
	v_mov_b32_e32 v3, s11
	v_add_co_u32_e32 v0, vcc, s10, v0
	v_addc_co_u32_e32 v1, vcc, v3, v1, vcc
	global_store_short_d16_hi v[0:1], v2, off
	v_and_b32_e32 v2, 0x7f800000, v23
	v_cmp_ne_u32_e32 vcc, s23, v2
                                        ; implicit-def: $vgpr2
	s_and_saveexec_b64 s[16:17], vcc
	s_xor_b64 s[16:17], exec, s[16:17]
; %bb.22:                               ;   in Loop: Header=BB29_11 Depth=1
	v_bfe_u32 v2, v23, 16, 1
	v_add3_u32 v2, v23, v2, s24
                                        ; implicit-def: $vgpr23
; %bb.23:                               ;   in Loop: Header=BB29_11 Depth=1
	s_andn2_saveexec_b64 s[16:17], s[16:17]
; %bb.24:                               ;   in Loop: Header=BB29_11 Depth=1
	v_or_b32_e32 v2, 0x10000, v23
	v_cmp_eq_u32_sdwa vcc, v23, v7 src0_sel:WORD_0 src1_sel:DWORD
	v_cndmask_b32_e32 v2, v2, v23, vcc
; %bb.25:                               ;   in Loop: Header=BB29_11 Depth=1
	s_or_b64 exec, exec, s[16:17]
	global_store_short_d16_hi v[0:1], v2, off offset:2
	v_and_b32_e32 v2, 0x7f800000, v20
	v_cmp_ne_u32_e32 vcc, s23, v2
                                        ; implicit-def: $vgpr2
	s_and_saveexec_b64 s[16:17], vcc
	s_xor_b64 s[16:17], exec, s[16:17]
; %bb.26:                               ;   in Loop: Header=BB29_11 Depth=1
	v_bfe_u32 v2, v20, 16, 1
	v_add3_u32 v2, v20, v2, s24
; %bb.27:                               ;   in Loop: Header=BB29_11 Depth=1
	s_andn2_saveexec_b64 s[16:17], s[16:17]
; %bb.28:                               ;   in Loop: Header=BB29_11 Depth=1
	v_or_b32_e32 v2, 0x10000, v20
	v_cmp_eq_u32_sdwa vcc, v20, v7 src0_sel:WORD_0 src1_sel:DWORD
	v_cndmask_b32_e32 v2, v2, v20, vcc
; %bb.29:                               ;   in Loop: Header=BB29_11 Depth=1
	s_or_b64 exec, exec, s[16:17]
	global_store_short_d16_hi v[0:1], v2, off offset:4
	v_and_b32_e32 v2, 0x7f800000, v21
	v_cmp_ne_u32_e32 vcc, s23, v2
                                        ; implicit-def: $vgpr2
	s_and_saveexec_b64 s[16:17], vcc
	s_xor_b64 s[16:17], exec, s[16:17]
; %bb.30:                               ;   in Loop: Header=BB29_11 Depth=1
	v_bfe_u32 v2, v21, 16, 1
	v_add3_u32 v2, v21, v2, s24
                                        ; implicit-def: $vgpr21
; %bb.31:                               ;   in Loop: Header=BB29_11 Depth=1
	s_andn2_saveexec_b64 s[16:17], s[16:17]
; %bb.32:                               ;   in Loop: Header=BB29_11 Depth=1
	v_or_b32_e32 v2, 0x10000, v21
	v_cmp_eq_u32_sdwa vcc, v21, v7 src0_sel:WORD_0 src1_sel:DWORD
	v_cndmask_b32_e32 v2, v2, v21, vcc
; %bb.33:                               ;   in Loop: Header=BB29_11 Depth=1
	s_or_b64 exec, exec, s[16:17]
	global_store_short_d16_hi v[0:1], v2, off offset:6
	v_and_b32_e32 v0, 0x7f800000, v18
	v_cmp_ne_u32_e32 vcc, s23, v0
                                        ; implicit-def: $vgpr0
	s_and_saveexec_b64 s[16:17], vcc
	s_xor_b64 s[16:17], exec, s[16:17]
; %bb.34:                               ;   in Loop: Header=BB29_11 Depth=1
	v_bfe_u32 v0, v18, 16, 1
	v_add3_u32 v0, v18, v0, s24
; %bb.35:                               ;   in Loop: Header=BB29_11 Depth=1
	s_andn2_saveexec_b64 s[16:17], s[16:17]
; %bb.36:                               ;   in Loop: Header=BB29_11 Depth=1
	v_or_b32_e32 v0, 0x10000, v18
	v_cmp_eq_u32_sdwa vcc, v18, v7 src0_sel:WORD_0 src1_sel:DWORD
	v_cndmask_b32_e32 v0, v0, v18, vcc
; %bb.37:                               ;   in Loop: Header=BB29_11 Depth=1
	s_or_b64 exec, exec, s[16:17]
	v_add_u32_e32 v6, s9, v4
	v_lshlrev_b64 v[2:3], 1, v[6:7]
	v_mov_b32_e32 v1, s11
	v_add_co_u32_e32 v2, vcc, s10, v2
	v_addc_co_u32_e32 v3, vcc, v1, v3, vcc
	global_store_short_d16_hi v[2:3], v0, off
	v_and_b32_e32 v0, 0x7f800000, v19
	v_cmp_ne_u32_e32 vcc, s23, v0
                                        ; implicit-def: $vgpr0
	s_and_saveexec_b64 s[16:17], vcc
	s_xor_b64 s[16:17], exec, s[16:17]
; %bb.38:                               ;   in Loop: Header=BB29_11 Depth=1
	v_bfe_u32 v0, v19, 16, 1
	v_add3_u32 v0, v19, v0, s24
                                        ; implicit-def: $vgpr19
; %bb.39:                               ;   in Loop: Header=BB29_11 Depth=1
	s_andn2_saveexec_b64 s[16:17], s[16:17]
; %bb.40:                               ;   in Loop: Header=BB29_11 Depth=1
	v_or_b32_e32 v0, 0x10000, v19
	v_cmp_eq_u32_sdwa vcc, v19, v7 src0_sel:WORD_0 src1_sel:DWORD
	v_cndmask_b32_e32 v0, v0, v19, vcc
; %bb.41:                               ;   in Loop: Header=BB29_11 Depth=1
	s_or_b64 exec, exec, s[16:17]
	v_add_u32_e32 v2, 1, v6
	v_mov_b32_e32 v3, v7
	v_lshlrev_b64 v[2:3], 1, v[2:3]
	v_mov_b32_e32 v1, s11
	v_add_co_u32_e32 v2, vcc, s10, v2
	v_addc_co_u32_e32 v3, vcc, v1, v3, vcc
	global_store_short_d16_hi v[2:3], v0, off
	v_and_b32_e32 v0, 0x7f800000, v16
	v_cmp_ne_u32_e32 vcc, s23, v0
                                        ; implicit-def: $vgpr0
	s_and_saveexec_b64 s[16:17], vcc
	s_xor_b64 s[16:17], exec, s[16:17]
; %bb.42:                               ;   in Loop: Header=BB29_11 Depth=1
	v_bfe_u32 v0, v16, 16, 1
	v_add3_u32 v0, v16, v0, s24
; %bb.43:                               ;   in Loop: Header=BB29_11 Depth=1
	s_andn2_saveexec_b64 s[16:17], s[16:17]
; %bb.44:                               ;   in Loop: Header=BB29_11 Depth=1
	v_or_b32_e32 v0, 0x10000, v16
	v_cmp_eq_u32_sdwa vcc, v16, v7 src0_sel:WORD_0 src1_sel:DWORD
	v_cndmask_b32_e32 v0, v0, v16, vcc
; %bb.45:                               ;   in Loop: Header=BB29_11 Depth=1
	s_or_b64 exec, exec, s[16:17]
	v_add_u32_e32 v2, 2, v6
	v_mov_b32_e32 v3, v7
	v_lshlrev_b64 v[2:3], 1, v[2:3]
	v_mov_b32_e32 v1, s11
	v_add_co_u32_e32 v2, vcc, s10, v2
	v_addc_co_u32_e32 v3, vcc, v1, v3, vcc
	global_store_short_d16_hi v[2:3], v0, off
	v_and_b32_e32 v0, 0x7f800000, v17
	v_cmp_ne_u32_e32 vcc, s23, v0
                                        ; implicit-def: $vgpr0
	s_and_saveexec_b64 s[16:17], vcc
	s_xor_b64 s[16:17], exec, s[16:17]
; %bb.46:                               ;   in Loop: Header=BB29_11 Depth=1
	v_bfe_u32 v0, v17, 16, 1
	v_add3_u32 v0, v17, v0, s24
                                        ; implicit-def: $vgpr17
; %bb.47:                               ;   in Loop: Header=BB29_11 Depth=1
	s_andn2_saveexec_b64 s[16:17], s[16:17]
; %bb.48:                               ;   in Loop: Header=BB29_11 Depth=1
	v_or_b32_e32 v0, 0x10000, v17
	v_cmp_eq_u32_sdwa vcc, v17, v7 src0_sel:WORD_0 src1_sel:DWORD
	v_cndmask_b32_e32 v0, v0, v17, vcc
; %bb.49:                               ;   in Loop: Header=BB29_11 Depth=1
	s_or_b64 exec, exec, s[16:17]
	v_add_u32_e32 v2, 3, v6
	v_mov_b32_e32 v3, v7
	v_lshlrev_b64 v[2:3], 1, v[2:3]
	v_mov_b32_e32 v1, s11
	v_add_co_u32_e32 v2, vcc, s10, v2
	v_addc_co_u32_e32 v3, vcc, v1, v3, vcc
	global_store_short_d16_hi v[2:3], v0, off
	v_and_b32_e32 v0, 0x7f800000, v14
	v_cmp_ne_u32_e32 vcc, s23, v0
                                        ; implicit-def: $vgpr2
	s_and_saveexec_b64 s[16:17], vcc
	s_xor_b64 s[16:17], exec, s[16:17]
; %bb.50:                               ;   in Loop: Header=BB29_11 Depth=1
	v_bfe_u32 v0, v14, 16, 1
	v_add3_u32 v2, v14, v0, s24
; %bb.51:                               ;   in Loop: Header=BB29_11 Depth=1
	s_andn2_saveexec_b64 s[16:17], s[16:17]
; %bb.52:                               ;   in Loop: Header=BB29_11 Depth=1
	v_or_b32_e32 v0, 0x10000, v14
	v_cmp_eq_u32_sdwa vcc, v14, v7 src0_sel:WORD_0 src1_sel:DWORD
	v_cndmask_b32_e32 v2, v0, v14, vcc
; %bb.53:                               ;   in Loop: Header=BB29_11 Depth=1
	s_or_b64 exec, exec, s[16:17]
	v_add_u32_e32 v6, s9, v6
	v_lshlrev_b64 v[0:1], 1, v[6:7]
	v_mov_b32_e32 v3, s11
	v_add_co_u32_e32 v0, vcc, s10, v0
	v_addc_co_u32_e32 v1, vcc, v3, v1, vcc
	global_store_short_d16_hi v[0:1], v2, off
	v_and_b32_e32 v2, 0x7f800000, v15
	v_cmp_ne_u32_e32 vcc, s23, v2
                                        ; implicit-def: $vgpr2
	s_and_saveexec_b64 s[16:17], vcc
	s_xor_b64 s[16:17], exec, s[16:17]
; %bb.54:                               ;   in Loop: Header=BB29_11 Depth=1
	v_bfe_u32 v2, v15, 16, 1
	v_add3_u32 v2, v15, v2, s24
                                        ; implicit-def: $vgpr15
; %bb.55:                               ;   in Loop: Header=BB29_11 Depth=1
	s_andn2_saveexec_b64 s[16:17], s[16:17]
; %bb.56:                               ;   in Loop: Header=BB29_11 Depth=1
	v_or_b32_e32 v2, 0x10000, v15
	v_cmp_eq_u32_sdwa vcc, v15, v7 src0_sel:WORD_0 src1_sel:DWORD
	v_cndmask_b32_e32 v2, v2, v15, vcc
; %bb.57:                               ;   in Loop: Header=BB29_11 Depth=1
	s_or_b64 exec, exec, s[16:17]
	global_store_short_d16_hi v[0:1], v2, off offset:2
	v_and_b32_e32 v0, 0x7f800000, v12
	v_cmp_ne_u32_e32 vcc, s23, v0
                                        ; implicit-def: $vgpr0
	s_and_saveexec_b64 s[16:17], vcc
	s_xor_b64 s[16:17], exec, s[16:17]
; %bb.58:                               ;   in Loop: Header=BB29_11 Depth=1
	v_bfe_u32 v0, v12, 16, 1
	v_add3_u32 v0, v12, v0, s24
; %bb.59:                               ;   in Loop: Header=BB29_11 Depth=1
	s_andn2_saveexec_b64 s[16:17], s[16:17]
; %bb.60:                               ;   in Loop: Header=BB29_11 Depth=1
	v_or_b32_e32 v0, 0x10000, v12
	v_cmp_eq_u32_sdwa vcc, v12, v7 src0_sel:WORD_0 src1_sel:DWORD
	v_cndmask_b32_e32 v0, v0, v12, vcc
; %bb.61:                               ;   in Loop: Header=BB29_11 Depth=1
	s_or_b64 exec, exec, s[16:17]
	v_add_u32_e32 v2, 2, v6
	v_mov_b32_e32 v3, v7
	v_lshlrev_b64 v[2:3], 1, v[2:3]
	v_mov_b32_e32 v1, s11
	v_add_co_u32_e32 v2, vcc, s10, v2
	v_addc_co_u32_e32 v3, vcc, v1, v3, vcc
	global_store_short_d16_hi v[2:3], v0, off
	v_and_b32_e32 v0, 0x7f800000, v13
	v_cmp_ne_u32_e32 vcc, s23, v0
                                        ; implicit-def: $vgpr0
	s_and_saveexec_b64 s[16:17], vcc
	s_xor_b64 s[16:17], exec, s[16:17]
; %bb.62:                               ;   in Loop: Header=BB29_11 Depth=1
	v_bfe_u32 v0, v13, 16, 1
	v_add3_u32 v0, v13, v0, s24
                                        ; implicit-def: $vgpr13
; %bb.63:                               ;   in Loop: Header=BB29_11 Depth=1
	s_andn2_saveexec_b64 s[16:17], s[16:17]
; %bb.64:                               ;   in Loop: Header=BB29_11 Depth=1
	v_or_b32_e32 v0, 0x10000, v13
	v_cmp_eq_u32_sdwa vcc, v13, v7 src0_sel:WORD_0 src1_sel:DWORD
	v_cndmask_b32_e32 v0, v0, v13, vcc
; %bb.65:                               ;   in Loop: Header=BB29_11 Depth=1
	s_or_b64 exec, exec, s[16:17]
	v_add_u32_e32 v2, 3, v6
	v_mov_b32_e32 v3, v7
	v_lshlrev_b64 v[2:3], 1, v[2:3]
	v_mov_b32_e32 v1, s11
	v_add_co_u32_e32 v2, vcc, s10, v2
	v_addc_co_u32_e32 v3, vcc, v1, v3, vcc
	global_store_short_d16_hi v[2:3], v0, off
	v_and_b32_e32 v0, 0x7f800000, v10
	v_cmp_ne_u32_e32 vcc, s23, v0
                                        ; implicit-def: $vgpr0
	s_and_saveexec_b64 s[16:17], vcc
	s_xor_b64 s[16:17], exec, s[16:17]
; %bb.66:                               ;   in Loop: Header=BB29_11 Depth=1
	v_bfe_u32 v0, v10, 16, 1
	v_add3_u32 v0, v10, v0, s24
; %bb.67:                               ;   in Loop: Header=BB29_11 Depth=1
	s_andn2_saveexec_b64 s[16:17], s[16:17]
; %bb.68:                               ;   in Loop: Header=BB29_11 Depth=1
	v_or_b32_e32 v0, 0x10000, v10
	v_cmp_eq_u32_sdwa vcc, v10, v7 src0_sel:WORD_0 src1_sel:DWORD
	v_cndmask_b32_e32 v0, v0, v10, vcc
; %bb.69:                               ;   in Loop: Header=BB29_11 Depth=1
	s_or_b64 exec, exec, s[16:17]
	v_add_u32_e32 v6, s9, v6
	v_lshlrev_b64 v[2:3], 1, v[6:7]
	v_mov_b32_e32 v1, s11
	v_add_co_u32_e32 v2, vcc, s10, v2
	v_addc_co_u32_e32 v3, vcc, v1, v3, vcc
	global_store_short_d16_hi v[2:3], v0, off
	v_and_b32_e32 v0, 0x7f800000, v11
	v_cmp_ne_u32_e32 vcc, s23, v0
                                        ; implicit-def: $vgpr0
	s_and_saveexec_b64 s[16:17], vcc
	s_xor_b64 s[16:17], exec, s[16:17]
; %bb.70:                               ;   in Loop: Header=BB29_11 Depth=1
	v_bfe_u32 v0, v11, 16, 1
	v_add3_u32 v0, v11, v0, s24
                                        ; implicit-def: $vgpr11
; %bb.71:                               ;   in Loop: Header=BB29_11 Depth=1
	s_andn2_saveexec_b64 s[16:17], s[16:17]
; %bb.72:                               ;   in Loop: Header=BB29_11 Depth=1
	v_or_b32_e32 v0, 0x10000, v11
	v_cmp_eq_u32_sdwa vcc, v11, v7 src0_sel:WORD_0 src1_sel:DWORD
	v_cndmask_b32_e32 v0, v0, v11, vcc
; %bb.73:                               ;   in Loop: Header=BB29_11 Depth=1
	s_or_b64 exec, exec, s[16:17]
	v_add_u32_e32 v2, 1, v6
	v_mov_b32_e32 v3, v7
	v_lshlrev_b64 v[2:3], 1, v[2:3]
	v_mov_b32_e32 v1, s11
	v_add_co_u32_e32 v2, vcc, s10, v2
	v_addc_co_u32_e32 v3, vcc, v1, v3, vcc
	global_store_short_d16_hi v[2:3], v0, off
	v_and_b32_e32 v0, 0x7f800000, v8
	v_cmp_ne_u32_e32 vcc, s23, v0
                                        ; implicit-def: $vgpr0
	s_and_saveexec_b64 s[16:17], vcc
	s_xor_b64 s[16:17], exec, s[16:17]
; %bb.74:                               ;   in Loop: Header=BB29_11 Depth=1
	v_bfe_u32 v0, v8, 16, 1
	v_add3_u32 v0, v8, v0, s24
; %bb.75:                               ;   in Loop: Header=BB29_11 Depth=1
	s_andn2_saveexec_b64 s[16:17], s[16:17]
; %bb.76:                               ;   in Loop: Header=BB29_11 Depth=1
	v_or_b32_e32 v0, 0x10000, v8
	v_cmp_eq_u32_sdwa vcc, v8, v7 src0_sel:WORD_0 src1_sel:DWORD
	v_cndmask_b32_e32 v0, v0, v8, vcc
; %bb.77:                               ;   in Loop: Header=BB29_11 Depth=1
	s_or_b64 exec, exec, s[16:17]
	v_add_u32_e32 v2, 2, v6
	v_mov_b32_e32 v3, v7
	v_lshlrev_b64 v[2:3], 1, v[2:3]
	v_mov_b32_e32 v1, s11
	v_add_co_u32_e32 v2, vcc, s10, v2
	v_addc_co_u32_e32 v3, vcc, v1, v3, vcc
	global_store_short_d16_hi v[2:3], v0, off
	v_and_b32_e32 v0, 0x7f800000, v9
	v_cmp_ne_u32_e32 vcc, s23, v0
                                        ; implicit-def: $vgpr0
	s_and_saveexec_b64 s[16:17], vcc
	s_xor_b64 s[16:17], exec, s[16:17]
; %bb.78:                               ;   in Loop: Header=BB29_11 Depth=1
	v_bfe_u32 v0, v9, 16, 1
	v_add3_u32 v0, v9, v0, s24
                                        ; implicit-def: $vgpr9
; %bb.79:                               ;   in Loop: Header=BB29_11 Depth=1
	s_andn2_saveexec_b64 s[16:17], s[16:17]
	s_cbranch_execz .LBB29_9
; %bb.80:                               ;   in Loop: Header=BB29_11 Depth=1
	v_or_b32_e32 v0, 0x10000, v9
	v_cmp_eq_u32_sdwa vcc, v9, v7 src0_sel:WORD_0 src1_sel:DWORD
	v_cndmask_b32_e32 v0, v0, v9, vcc
	s_branch .LBB29_9
.LBB29_81:
	s_endpgm
	.section	.rodata,"a",@progbits
	.p2align	6, 0x0
	.amdhsa_kernel _Z16wvSplitK_hf_sml_I14__hip_bfloat16Li64ELi4ELi16ELi8ELi1ELi4EEviiPKT_S3_PS1_ii
		.amdhsa_group_segment_fixed_size 65536
		.amdhsa_private_segment_fixed_size 0
		.amdhsa_kernarg_size 40
		.amdhsa_user_sgpr_count 6
		.amdhsa_user_sgpr_private_segment_buffer 1
		.amdhsa_user_sgpr_dispatch_ptr 0
		.amdhsa_user_sgpr_queue_ptr 0
		.amdhsa_user_sgpr_kernarg_segment_ptr 1
		.amdhsa_user_sgpr_dispatch_id 0
		.amdhsa_user_sgpr_flat_scratch_init 0
		.amdhsa_user_sgpr_kernarg_preload_length 0
		.amdhsa_user_sgpr_kernarg_preload_offset 0
		.amdhsa_user_sgpr_private_segment_size 0
		.amdhsa_uses_dynamic_stack 0
		.amdhsa_system_sgpr_private_segment_wavefront_offset 0
		.amdhsa_system_sgpr_workgroup_id_x 1
		.amdhsa_system_sgpr_workgroup_id_y 0
		.amdhsa_system_sgpr_workgroup_id_z 0
		.amdhsa_system_sgpr_workgroup_info 0
		.amdhsa_system_vgpr_workitem_id 1
		.amdhsa_next_free_vgpr 87
		.amdhsa_next_free_sgpr 25
		.amdhsa_accum_offset 88
		.amdhsa_reserve_vcc 1
		.amdhsa_reserve_flat_scratch 0
		.amdhsa_float_round_mode_32 0
		.amdhsa_float_round_mode_16_64 0
		.amdhsa_float_denorm_mode_32 3
		.amdhsa_float_denorm_mode_16_64 3
		.amdhsa_dx10_clamp 1
		.amdhsa_ieee_mode 1
		.amdhsa_fp16_overflow 0
		.amdhsa_tg_split 0
		.amdhsa_exception_fp_ieee_invalid_op 0
		.amdhsa_exception_fp_denorm_src 0
		.amdhsa_exception_fp_ieee_div_zero 0
		.amdhsa_exception_fp_ieee_overflow 0
		.amdhsa_exception_fp_ieee_underflow 0
		.amdhsa_exception_fp_ieee_inexact 0
		.amdhsa_exception_int_div_zero 0
	.end_amdhsa_kernel
	.section	.text._Z16wvSplitK_hf_sml_I14__hip_bfloat16Li64ELi4ELi16ELi8ELi1ELi4EEviiPKT_S3_PS1_ii,"axG",@progbits,_Z16wvSplitK_hf_sml_I14__hip_bfloat16Li64ELi4ELi16ELi8ELi1ELi4EEviiPKT_S3_PS1_ii,comdat
.Lfunc_end29:
	.size	_Z16wvSplitK_hf_sml_I14__hip_bfloat16Li64ELi4ELi16ELi8ELi1ELi4EEviiPKT_S3_PS1_ii, .Lfunc_end29-_Z16wvSplitK_hf_sml_I14__hip_bfloat16Li64ELi4ELi16ELi8ELi1ELi4EEviiPKT_S3_PS1_ii
                                        ; -- End function
	.section	.AMDGPU.csdata,"",@progbits
; Kernel info:
; codeLenInByte = 5620
; NumSgprs: 29
; NumVgprs: 87
; NumAgprs: 0
; TotalNumVgprs: 87
; ScratchSize: 0
; MemoryBound: 0
; FloatMode: 240
; IeeeMode: 1
; LDSByteSize: 65536 bytes/workgroup (compile time only)
; SGPRBlocks: 3
; VGPRBlocks: 10
; NumSGPRsForWavesPerEU: 29
; NumVGPRsForWavesPerEU: 87
; AccumOffset: 88
; Occupancy: 4
; WaveLimiterHint : 0
; COMPUTE_PGM_RSRC2:SCRATCH_EN: 0
; COMPUTE_PGM_RSRC2:USER_SGPR: 6
; COMPUTE_PGM_RSRC2:TRAP_HANDLER: 0
; COMPUTE_PGM_RSRC2:TGID_X_EN: 1
; COMPUTE_PGM_RSRC2:TGID_Y_EN: 0
; COMPUTE_PGM_RSRC2:TGID_Z_EN: 0
; COMPUTE_PGM_RSRC2:TIDIG_COMP_CNT: 1
; COMPUTE_PGM_RSRC3_GFX90A:ACCUM_OFFSET: 21
; COMPUTE_PGM_RSRC3_GFX90A:TG_SPLIT: 0
	.section	.text._Z12wvSplitK_hf_I14__hip_bfloat16Li64ELi7ELi16ELi8ELi1ELi4EEviiPKT_S3_PS1_ii,"axG",@progbits,_Z12wvSplitK_hf_I14__hip_bfloat16Li64ELi7ELi16ELi8ELi1ELi4EEviiPKT_S3_PS1_ii,comdat
	.protected	_Z12wvSplitK_hf_I14__hip_bfloat16Li64ELi7ELi16ELi8ELi1ELi4EEviiPKT_S3_PS1_ii ; -- Begin function _Z12wvSplitK_hf_I14__hip_bfloat16Li64ELi7ELi16ELi8ELi1ELi4EEviiPKT_S3_PS1_ii
	.globl	_Z12wvSplitK_hf_I14__hip_bfloat16Li64ELi7ELi16ELi8ELi1ELi4EEviiPKT_S3_PS1_ii
	.p2align	8
	.type	_Z12wvSplitK_hf_I14__hip_bfloat16Li64ELi7ELi16ELi8ELi1ELi4EEviiPKT_S3_PS1_ii,@function
_Z12wvSplitK_hf_I14__hip_bfloat16Li64ELi7ELi16ELi8ELi1ELi4EEviiPKT_S3_PS1_ii: ; @_Z12wvSplitK_hf_I14__hip_bfloat16Li64ELi7ELi16ELi8ELi1ELi4EEviiPKT_S3_PS1_ii
; %bb.0:
	s_mov_b64 s[46:47], s[2:3]
	s_mov_b64 s[44:45], s[0:1]
	s_load_dwordx2 s[2:3], s[4:5], 0x20
	s_load_dwordx2 s[18:19], s[4:5], 0x0
	;; [unrolled: 1-line block ×3, first 2 shown]
	v_bfe_u32 v9, v0, 10, 10
	s_mov_b32 s8, 1
	s_waitcnt lgkmcnt(0)
	s_mul_i32 s6, s6, s2
	v_add_u32_e32 v1, s6, v9
	v_mul_lo_u32 v18, v1, 7
	v_add_u32_e32 v1, 7, v18
	s_add_u32 s44, s44, s7
	v_cmp_gt_u32_e32 vcc, s19, v18
	v_cmp_le_u32_e64 s[0:1], s19, v1
	s_mov_b32 s9, s8
	s_mov_b32 s10, s8
	;; [unrolled: 1-line block ×6, first 2 shown]
	v_mov_b32_e32 v2, s8
	s_addc_u32 s45, s45, 0
	s_and_b64 s[6:7], vcc, s[0:1]
	v_mov_b32_e32 v3, s9
	v_mov_b32_e32 v4, s10
	;; [unrolled: 1-line block ×6, first 2 shown]
	s_and_saveexec_b64 s[0:1], s[6:7]
	s_cbranch_execz .LBB30_6
; %bb.1:
	s_add_i32 s15, s19, -7
	v_mov_b32_e32 v2, s8
	v_cmp_ne_u32_e32 vcc, s15, v18
	v_mov_b32_e32 v3, s9
	v_mov_b32_e32 v4, s10
	;; [unrolled: 1-line block ×6, first 2 shown]
	s_and_saveexec_b64 s[6:7], vcc
	s_cbranch_execz .LBB30_5
; %bb.2:
	v_subrev_u32_e32 v1, s15, v18
	v_cmp_lt_u32_e32 vcc, 1, v1
	v_cndmask_b32_e32 v10, 1, v1, vcc
	s_mov_b64 s[16:17], 0
	s_mov_b64 s[22:23], 0
	s_mov_b32 s9, s8
	s_mov_b32 s10, s8
	;; [unrolled: 1-line block ×6, first 2 shown]
.LBB30_3:                               ; =>This Inner Loop Header: Depth=1
	s_cmp_lg_u32 s22, 6
	s_cselect_b32 s14, s14, 0
	s_cmp_lg_u32 s22, 5
	s_cselect_b32 s13, s13, 0
	;; [unrolled: 2-line block ×7, first 2 shown]
	s_add_u32 s22, s22, 1
	s_addc_u32 s23, s23, 0
	v_cmp_eq_u32_e32 vcc, s22, v10
	v_mov_b32_e32 v2, s8
	s_or_b64 s[16:17], vcc, s[16:17]
	v_mov_b32_e32 v3, s9
	v_mov_b32_e32 v4, s10
	;; [unrolled: 1-line block ×6, first 2 shown]
	s_andn2_b64 exec, exec, s[16:17]
	s_cbranch_execnz .LBB30_3
; %bb.4:
	s_or_b64 exec, exec, s[16:17]
	v_mov_b32_e32 v18, s15
.LBB30_5:
	s_or_b64 exec, exec, s[6:7]
.LBB30_6:
	s_or_b64 exec, exec, s[0:1]
	v_and_b32_e32 v10, 0x3ff, v0
	v_lshlrev_b32_e32 v0, 3, v10
	s_lshl_b32 s33, s18, 2
	buffer_store_dword v0, off, s[44:47], 0 offset:144 ; 4-byte Folded Spill
	s_nop 0
	buffer_store_dword v1, off, s[44:47], 0 offset:148 ; 4-byte Folded Spill
	s_cmp_lg_u32 s18, 0
	s_mov_b32 s12, 0
	s_cselect_b64 s[6:7], -1, 0
	s_cmp_eq_u32 s18, 0
	v_lshlrev_b32_e32 v0, 4, v10
	buffer_store_dword v0, off, s[44:47], 0 offset:184 ; 4-byte Folded Spill
	s_cbranch_scc1 .LBB30_12
; %bb.7:
	v_lshlrev_b32_e32 v0, 4, v10
	v_lshl_add_u32 v11, v9, 10, v0
	v_lshlrev_b32_e32 v0, 3, v10
	s_min_i32 s13, s33, 0x8000
	v_lshl_add_u32 v12, v9, 9, v0
	s_mov_b64 s[0:1], 0
	v_mov_b32_e32 v1, 0
                                        ; implicit-def: $sgpr8_sgpr9
	s_branch .LBB30_9
.LBB30_8:                               ;   in Loop: Header=BB30_9 Depth=1
	s_or_b64 exec, exec, s[10:11]
	s_and_b64 s[10:11], exec, s[8:9]
	s_or_b64 s[0:1], s[10:11], s[0:1]
	s_andn2_b64 exec, exec, s[0:1]
	s_cbranch_execz .LBB30_11
.LBB30_9:                               ; =>This Inner Loop Header: Depth=1
	v_add_u32_e32 v0, s12, v12
	v_cmp_gt_u32_e32 vcc, s13, v0
	s_or_b64 s[8:9], s[8:9], exec
	s_and_saveexec_b64 s[10:11], vcc
	s_cbranch_execz .LBB30_8
; %bb.10:                               ;   in Loop: Header=BB30_9 Depth=1
	v_lshlrev_b64 v[14:15], 1, v[0:1]
	v_mov_b32_e32 v0, s21
	v_add_co_u32_e32 v14, vcc, s20, v14
	v_addc_co_u32_e32 v15, vcc, v0, v15, vcc
	global_load_dwordx4 v[14:17], v[14:15], off
	s_addk_i32 s12, 0x2000
	s_cmp_ge_u32 s12, s13
	s_cselect_b64 s[14:15], -1, 0
	s_andn2_b64 s[8:9], s[8:9], exec
	s_and_b64 s[14:15], s[14:15], exec
	s_or_b64 s[8:9], s[8:9], s[14:15]
	s_waitcnt vmcnt(0)
	ds_write_b128 v11, v[14:17]
	v_add_u32_e32 v11, 0x4000, v11
	s_branch .LBB30_8
.LBB30_11:
	s_or_b64 exec, exec, s[0:1]
.LBB30_12:
	v_cmp_gt_u32_e32 vcc, s2, v9
	v_cmp_gt_u32_e64 s[0:1], s19, v18
	v_mov_b32_e32 v0, v18
	s_and_b64 s[0:1], vcc, s[0:1]
	s_waitcnt lgkmcnt(0)
	s_barrier
	buffer_store_dword v0, off, s[44:47], 0 offset:176 ; 4-byte Folded Spill
	s_nop 0
	buffer_store_dword v1, off, s[44:47], 0 offset:180 ; 4-byte Folded Spill
	s_and_saveexec_b64 s[8:9], s[0:1]
	s_cbranch_execz .LBB30_220
; %bb.13:
	s_load_dwordx2 s[22:23], s[4:5], 0x8
	s_load_dwordx2 s[24:25], s[4:5], 0x18
	buffer_load_dword v0, off, s[44:47], 0 offset:144 ; 4-byte Folded Reload
	buffer_load_dword v1, off, s[44:47], 0 offset:148 ; 4-byte Folded Reload
	s_lshl_b32 s40, s18, 1
	s_mul_i32 s38, s2, s3
	s_ashr_i32 s3, s18, 31
	s_mov_b32 s2, s18
	v_cmp_eq_u32_e64 s[0:1], 63, v10
	s_lshl_b64 s[26:27], s[2:3], 1
	s_mul_i32 s38, s38, 7
	s_add_i32 s39, s19, -7
	s_mul_i32 s41, s18, 6
	s_mov_b64 s[28:29], 0
	v_mov_b32_e32 v59, 0
	s_movk_i32 s42, 0x7fff
	s_mov_b32 s43, 0x7f800000
                                        ; implicit-def: $vgpr9
                                        ; implicit-def: $vgpr34_vgpr35_vgpr36_vgpr37
                                        ; implicit-def: $vgpr30_vgpr31_vgpr32_vgpr33
                                        ; implicit-def: $vgpr26_vgpr27_vgpr28_vgpr29
                                        ; implicit-def: $vgpr22_vgpr23_vgpr24_vgpr25
                                        ; implicit-def: $vgpr18_vgpr19_vgpr20_vgpr21
                                        ; implicit-def: $vgpr14_vgpr15_vgpr16_vgpr17
                                        ; implicit-def: $vgpr49
                                        ; implicit-def: $vgpr53
	s_waitcnt vmcnt(0)
	v_add_u32_e32 v1, s40, v0
	v_mad_u64_u32 v[10:11], s[2:3], s18, 3, v[0:1]
	v_add_u32_e32 v0, s18, v0
	buffer_store_dword v1, off, s[44:47], 0 offset:160 ; 4-byte Folded Spill
	buffer_store_dword v10, off, s[44:47], 0 offset:164 ; 4-byte Folded Spill
	s_nop 0
	buffer_store_dword v11, off, s[44:47], 0 offset:168 ; 4-byte Folded Spill
	buffer_store_dword v0, off, s[44:47], 0 offset:172 ; 4-byte Folded Spill
	v_cndmask_b32_e64 v0, 0, 1, s[6:7]
	v_cmp_ne_u32_e64 s[2:3], 1, v0
                                        ; implicit-def: $vgpr10_vgpr11_vgpr12_vgpr13
	buffer_store_dword v6, off, s[44:47], 0 ; 4-byte Folded Spill
	s_nop 0
	buffer_store_dword v7, off, s[44:47], 0 offset:4 ; 4-byte Folded Spill
	buffer_store_dword v8, off, s[44:47], 0 offset:8 ; 4-byte Folded Spill
	;; [unrolled: 1-line block ×3, first 2 shown]
                                        ; implicit-def: $vgpr9
	buffer_store_dword v6, off, s[44:47], 0 offset:16 ; 4-byte Folded Spill
	s_nop 0
	buffer_store_dword v7, off, s[44:47], 0 offset:20 ; 4-byte Folded Spill
	buffer_store_dword v8, off, s[44:47], 0 offset:24 ; 4-byte Folded Spill
	;; [unrolled: 1-line block ×3, first 2 shown]
	s_branch .LBB30_16
.LBB30_14:                              ;   in Loop: Header=BB30_16 Depth=1
	s_or_b64 exec, exec, s[8:9]
	v_mov_b32_e32 v38, s39
.LBB30_15:                              ;   in Loop: Header=BB30_16 Depth=1
	s_or_b64 exec, exec, s[6:7]
	v_cmp_le_u32_e32 vcc, s19, v38
	v_mov_b32_e32 v0, v38
	s_or_b64 s[28:29], vcc, s[28:29]
	buffer_store_dword v0, off, s[44:47], 0 offset:176 ; 4-byte Folded Spill
	s_nop 0
	buffer_store_dword v1, off, s[44:47], 0 offset:180 ; 4-byte Folded Spill
	s_andn2_b64 exec, exec, s[28:29]
	s_cbranch_execz .LBB30_220
.LBB30_16:                              ; =>This Loop Header: Depth=1
                                        ;     Child Loop BB30_19 Depth 2
                                        ;     Child Loop BB30_218 Depth 2
	s_and_b64 vcc, exec, s[2:3]
	s_mov_b32 s10, 0
	s_cbranch_vccnz .LBB30_45
; %bb.17:                               ;   in Loop: Header=BB30_16 Depth=1
	buffer_load_dword v0, off, s[44:47], 0 offset:144 ; 4-byte Folded Reload
	buffer_load_dword v1, off, s[44:47], 0 offset:148 ; 4-byte Folded Reload
	;; [unrolled: 1-line block ×4, first 2 shown]
	s_waitcnt vmcnt(1)
	v_mad_u64_u32 v[0:1], s[4:5], v38, s18, v[0:1]
	buffer_store_dword v0, off, s[44:47], 0 offset:152 ; 4-byte Folded Spill
	s_nop 0
	buffer_store_dword v1, off, s[44:47], 0 offset:156 ; 4-byte Folded Spill
	v_mov_b32_e32 v0, 0
	buffer_store_dword v0, off, s[44:47], 0 offset:84 ; 4-byte Folded Spill
	v_mov_b32_e32 v0, 0
	v_mov_b32_e32 v38, 0
	buffer_store_dword v0, off, s[44:47], 0 offset:112 ; 4-byte Folded Spill
	v_mov_b32_e32 v0, 0
	buffer_store_dword v0, off, s[44:47], 0 offset:140 ; 4-byte Folded Spill
	v_mov_b32_e32 v0, 0
	v_mov_b32_e32 v1, v38
	buffer_load_dword v9, off, s[44:47], 0 offset:184 ; 4-byte Folded Reload
	s_nop 0
	buffer_store_dword v0, off, s[44:47], 0 offset:116 ; 4-byte Folded Spill
	s_nop 0
	buffer_store_dword v1, off, s[44:47], 0 offset:120 ; 4-byte Folded Spill
	v_mov_b32_e32 v0, 0
	buffer_store_dword v0, off, s[44:47], 0 offset:124 ; 4-byte Folded Spill
	s_nop 0
	buffer_store_dword v1, off, s[44:47], 0 offset:128 ; 4-byte Folded Spill
	v_mov_b32_e32 v0, 0
	;; [unrolled: 4-line block ×11, first 2 shown]
	v_mov_b32_e32 v0, 0
	buffer_store_dword v1, off, s[44:47], 0 offset:56 ; 4-byte Folded Spill
	v_mov_b32_e32 v1, v38
	buffer_store_dword v0, off, s[44:47], 0 offset:48 ; 4-byte Folded Spill
	s_nop 0
	buffer_store_dword v1, off, s[44:47], 0 offset:52 ; 4-byte Folded Spill
	s_branch .LBB30_19
.LBB30_18:                              ;   in Loop: Header=BB30_19 Depth=2
	s_or_b64 exec, exec, s[4:5]
	s_addk_i32 s10, 0x200
	s_cmp_ge_u32 s10, s18
	v_add_u32_e32 v9, 0x400, v9
	s_cbranch_scc1 .LBB30_46
.LBB30_19:                              ;   Parent Loop BB30_16 Depth=1
                                        ; =>  This Inner Loop Header: Depth=2
	buffer_load_dword v0, off, s[44:47], 0 offset:144 ; 4-byte Folded Reload
	buffer_load_dword v1, off, s[44:47], 0 offset:148 ; 4-byte Folded Reload
	s_waitcnt vmcnt(1)
	v_add_u32_e32 v0, s10, v0
	v_cmp_gt_u32_e32 vcc, s18, v0
	s_and_saveexec_b64 s[6:7], vcc
	s_cbranch_execz .LBB30_37
; %bb.20:                               ;   in Loop: Header=BB30_19 Depth=2
	buffer_load_dword v10, off, s[44:47], 0 offset:152 ; 4-byte Folded Reload
	buffer_load_dword v11, off, s[44:47], 0 offset:156 ; 4-byte Folded Reload
	s_waitcnt vmcnt(2) lgkmcnt(0)
	v_mov_b32_e32 v1, s23
                                        ; implicit-def: $vgpr38
	s_waitcnt vmcnt(1)
	v_add_u32_e32 v58, s10, v10
	s_waitcnt vmcnt(0)
	v_lshlrev_b64 v[10:11], 1, v[58:59]
	v_add_co_u32_e64 v18, s[4:5], s22, v10
	v_addc_co_u32_e64 v19, s[4:5], v1, v11, s[4:5]
	v_mov_b32_e32 v1, s27
	v_add_co_u32_e64 v20, s[4:5], s26, v18
	v_addc_co_u32_e64 v21, s[4:5], v19, v1, s[4:5]
	global_load_dwordx4 v[10:13], v[18:19], off glc slc
	global_load_dwordx4 v[14:17], v[20:21], off glc slc
	v_add_co_u32_e64 v18, s[4:5], s26, v20
	v_addc_co_u32_e64 v19, s[4:5], v21, v1, s[4:5]
	v_add_co_u32_e64 v26, s[4:5], s26, v18
	v_addc_co_u32_e64 v27, s[4:5], v19, v1, s[4:5]
	global_load_dwordx4 v[18:21], v[18:19], off glc slc
	s_nop 0
	global_load_dwordx4 v[22:25], v[26:27], off glc slc
	v_add_co_u32_e64 v26, s[4:5], s26, v26
	v_addc_co_u32_e64 v27, s[4:5], v27, v1, s[4:5]
	v_add_co_u32_e64 v34, s[4:5], s26, v26
	v_addc_co_u32_e64 v35, s[4:5], v27, v1, s[4:5]
	global_load_dwordx4 v[26:29], v[26:27], off glc slc
	s_nop 0
	global_load_dwordx4 v[30:33], v[34:35], off glc slc
	v_add_co_u32_e64 v34, s[4:5], s26, v34
	v_addc_co_u32_e64 v35, s[4:5], v35, v1, s[4:5]
	global_load_dwordx4 v[34:37], v[34:35], off glc slc
	v_cmp_lt_u32_e64 s[4:5], s42, v0
	buffer_store_dword v38, off, s[44:47], 0 ; 4-byte Folded Spill
	s_nop 0
	buffer_store_dword v39, off, s[44:47], 0 offset:4 ; 4-byte Folded Spill
	buffer_store_dword v40, off, s[44:47], 0 offset:8 ; 4-byte Folded Spill
	;; [unrolled: 1-line block ×3, first 2 shown]
	s_and_saveexec_b64 s[8:9], s[4:5]
	s_xor_b64 s[8:9], exec, s[8:9]
	s_cbranch_execz .LBB30_22
; %bb.21:                               ;   in Loop: Header=BB30_19 Depth=2
	v_mov_b32_e32 v1, v59
	v_lshlrev_b64 v[0:1], 1, v[0:1]
	v_mov_b32_e32 v38, s21
	v_add_co_u32_e64 v0, s[4:5], s20, v0
	v_addc_co_u32_e64 v1, s[4:5], v38, v1, s[4:5]
	global_load_dwordx4 v[38:41], v[0:1], off
	s_waitcnt vmcnt(0)
	buffer_store_dword v38, off, s[44:47], 0 ; 4-byte Folded Spill
	s_nop 0
	buffer_store_dword v39, off, s[44:47], 0 offset:4 ; 4-byte Folded Spill
	buffer_store_dword v40, off, s[44:47], 0 offset:8 ; 4-byte Folded Spill
	;; [unrolled: 1-line block ×3, first 2 shown]
.LBB30_22:                              ;   in Loop: Header=BB30_19 Depth=2
	s_andn2_saveexec_b64 s[4:5], s[8:9]
	s_cbranch_execz .LBB30_24
; %bb.23:                               ;   in Loop: Header=BB30_19 Depth=2
	ds_read_b128 v[38:41], v9
	s_waitcnt lgkmcnt(0)
	buffer_store_dword v38, off, s[44:47], 0 ; 4-byte Folded Spill
	s_nop 0
	buffer_store_dword v39, off, s[44:47], 0 offset:4 ; 4-byte Folded Spill
	buffer_store_dword v40, off, s[44:47], 0 offset:8 ; 4-byte Folded Spill
	;; [unrolled: 1-line block ×3, first 2 shown]
.LBB30_24:                              ;   in Loop: Header=BB30_19 Depth=2
	s_or_b64 exec, exec, s[4:5]
	buffer_load_dword v0, off, s[44:47], 0 offset:172 ; 4-byte Folded Reload
	s_waitcnt vmcnt(0)
	v_add_u32_e32 v58, s10, v0
	v_cmp_lt_u32_e64 s[4:5], s42, v58
                                        ; implicit-def: $vgpr0
	buffer_store_dword v0, off, s[44:47], 0 offset:16 ; 4-byte Folded Spill
	s_nop 0
	buffer_store_dword v1, off, s[44:47], 0 offset:20 ; 4-byte Folded Spill
	buffer_store_dword v2, off, s[44:47], 0 offset:24 ; 4-byte Folded Spill
	;; [unrolled: 1-line block ×3, first 2 shown]
	s_and_saveexec_b64 s[8:9], s[4:5]
	s_xor_b64 s[8:9], exec, s[8:9]
	s_cbranch_execz .LBB30_26
; %bb.25:                               ;   in Loop: Header=BB30_19 Depth=2
	v_lshlrev_b64 v[0:1], 1, v[58:59]
	v_mov_b32_e32 v38, s21
	v_add_co_u32_e64 v0, s[4:5], s20, v0
	v_addc_co_u32_e64 v1, s[4:5], v38, v1, s[4:5]
	global_load_dwordx4 v[38:41], v[0:1], off
	s_waitcnt vmcnt(0)
	buffer_store_dword v38, off, s[44:47], 0 offset:16 ; 4-byte Folded Spill
	s_nop 0
	buffer_store_dword v39, off, s[44:47], 0 offset:20 ; 4-byte Folded Spill
	buffer_store_dword v40, off, s[44:47], 0 offset:24 ; 4-byte Folded Spill
	;; [unrolled: 1-line block ×3, first 2 shown]
.LBB30_26:                              ;   in Loop: Header=BB30_19 Depth=2
	s_andn2_saveexec_b64 s[4:5], s[8:9]
	s_cbranch_execz .LBB30_28
; %bb.27:                               ;   in Loop: Header=BB30_19 Depth=2
	v_add_u32_e32 v0, s40, v9
	ds_read_b128 v[38:41], v0
	s_waitcnt lgkmcnt(0)
	buffer_store_dword v38, off, s[44:47], 0 offset:16 ; 4-byte Folded Spill
	s_nop 0
	buffer_store_dword v39, off, s[44:47], 0 offset:20 ; 4-byte Folded Spill
	buffer_store_dword v40, off, s[44:47], 0 offset:24 ; 4-byte Folded Spill
	;; [unrolled: 1-line block ×3, first 2 shown]
.LBB30_28:                              ;   in Loop: Header=BB30_19 Depth=2
	s_or_b64 exec, exec, s[4:5]
	buffer_load_dword v0, off, s[44:47], 0 offset:160 ; 4-byte Folded Reload
                                        ; implicit-def: $vgpr46
	s_waitcnt vmcnt(0)
	v_add_u32_e32 v58, s10, v0
	v_cmp_lt_u32_e64 s[4:5], s42, v58
	s_and_saveexec_b64 s[8:9], s[4:5]
	s_xor_b64 s[8:9], exec, s[8:9]
	s_cbranch_execz .LBB30_30
; %bb.29:                               ;   in Loop: Header=BB30_19 Depth=2
	v_lshlrev_b64 v[0:1], 1, v[58:59]
	v_mov_b32_e32 v38, s21
	v_add_co_u32_e64 v0, s[4:5], s20, v0
	v_addc_co_u32_e64 v1, s[4:5], v38, v1, s[4:5]
	global_load_dwordx4 v[46:49], v[0:1], off
.LBB30_30:                              ;   in Loop: Header=BB30_19 Depth=2
	s_andn2_saveexec_b64 s[4:5], s[8:9]
	s_cbranch_execz .LBB30_32
; %bb.31:                               ;   in Loop: Header=BB30_19 Depth=2
	v_add_u32_e32 v0, s33, v9
	s_waitcnt vmcnt(0)
	ds_read2_b32 v[46:47], v0 offset1:1
	ds_read2_b32 v[48:49], v0 offset0:2 offset1:3
.LBB30_32:                              ;   in Loop: Header=BB30_19 Depth=2
	s_or_b64 exec, exec, s[4:5]
	buffer_load_dword v0, off, s[44:47], 0 offset:164 ; 4-byte Folded Reload
	buffer_load_dword v1, off, s[44:47], 0 offset:168 ; 4-byte Folded Reload
                                        ; implicit-def: $vgpr50
	s_waitcnt vmcnt(1)
	v_add_u32_e32 v58, s10, v0
	v_cmp_lt_u32_e64 s[4:5], s42, v58
	s_and_saveexec_b64 s[8:9], s[4:5]
	s_xor_b64 s[8:9], exec, s[8:9]
	s_cbranch_execz .LBB30_34
; %bb.33:                               ;   in Loop: Header=BB30_19 Depth=2
	s_waitcnt vmcnt(0)
	v_lshlrev_b64 v[0:1], 1, v[58:59]
	v_mov_b32_e32 v38, s21
	v_add_co_u32_e64 v0, s[4:5], s20, v0
	v_addc_co_u32_e64 v1, s[4:5], v38, v1, s[4:5]
	global_load_dwordx4 v[50:53], v[0:1], off
.LBB30_34:                              ;   in Loop: Header=BB30_19 Depth=2
	s_andn2_saveexec_b64 s[4:5], s[8:9]
	s_cbranch_execz .LBB30_36
; %bb.35:                               ;   in Loop: Header=BB30_19 Depth=2
	v_add_u32_e32 v0, s41, v9
	s_waitcnt vmcnt(0)
	ds_read_b128 v[50:53], v0
.LBB30_36:                              ;   in Loop: Header=BB30_19 Depth=2
	s_or_b64 exec, exec, s[4:5]
.LBB30_37:                              ;   in Loop: Header=BB30_19 Depth=2
	s_or_b64 exec, exec, s[6:7]
	v_and_b32_e32 v65, 0xffff0000, v10
	v_lshlrev_b32_e32 v64, 16, v10
	v_and_b32_e32 v63, 0xffff0000, v11
	v_lshlrev_b32_e32 v62, 16, v11
	;; [unrolled: 2-line block ×4, first 2 shown]
	s_waitcnt vmcnt(0)
	v_and_b32_e32 v1, 0xffff0000, v14
	v_lshlrev_b32_e32 v0, 16, v14
	v_and_b32_e32 v57, 0xffff0000, v15
	v_lshlrev_b32_e32 v56, 16, v15
	v_and_b32_e32 v55, 0xffff0000, v16
	v_lshlrev_b32_e32 v54, 16, v16
	v_and_b32_e32 v127, 0xffff0000, v17
	v_lshlrev_b32_e32 v126, 16, v17
	v_and_b32_e32 v125, 0xffff0000, v18
	v_lshlrev_b32_e32 v124, 16, v18
	v_and_b32_e32 v123, 0xffff0000, v19
	v_lshlrev_b32_e32 v122, 16, v19
	v_and_b32_e32 v121, 0xffff0000, v20
	v_lshlrev_b32_e32 v120, 16, v20
	v_and_b32_e32 v119, 0xffff0000, v21
	v_lshlrev_b32_e32 v118, 16, v21
	v_and_b32_e32 v117, 0xffff0000, v22
	v_lshlrev_b32_e32 v116, 16, v22
	v_and_b32_e32 v115, 0xffff0000, v23
	v_lshlrev_b32_e32 v114, 16, v23
	v_and_b32_e32 v113, 0xffff0000, v24
	v_lshlrev_b32_e32 v112, 16, v24
	v_and_b32_e32 v111, 0xffff0000, v25
	v_lshlrev_b32_e32 v110, 16, v25
	v_and_b32_e32 v109, 0xffff0000, v26
	v_lshlrev_b32_e32 v108, 16, v26
	v_and_b32_e32 v107, 0xffff0000, v27
	v_lshlrev_b32_e32 v106, 16, v27
	v_and_b32_e32 v105, 0xffff0000, v28
	v_lshlrev_b32_e32 v104, 16, v28
	v_and_b32_e32 v103, 0xffff0000, v29
	v_lshlrev_b32_e32 v102, 16, v29
	v_and_b32_e32 v101, 0xffff0000, v30
	v_lshlrev_b32_e32 v100, 16, v30
	v_and_b32_e32 v99, 0xffff0000, v31
	v_lshlrev_b32_e32 v98, 16, v31
	v_and_b32_e32 v97, 0xffff0000, v32
	v_lshlrev_b32_e32 v96, 16, v32
	v_and_b32_e32 v95, 0xffff0000, v33
	v_lshlrev_b32_e32 v94, 16, v33
	v_and_b32_e32 v93, 0xffff0000, v34
	v_lshlrev_b32_e32 v92, 16, v34
	v_and_b32_e32 v91, 0xffff0000, v35
	v_lshlrev_b32_e32 v90, 16, v35
	v_and_b32_e32 v89, 0xffff0000, v36
	v_lshlrev_b32_e32 v88, 16, v36
	v_and_b32_e32 v87, 0xffff0000, v37
	v_lshlrev_b32_e32 v86, 16, v37
	s_and_saveexec_b64 s[4:5], vcc
	s_cbranch_execnz .LBB30_41
; %bb.38:                               ;   in Loop: Header=BB30_19 Depth=2
	s_or_b64 exec, exec, s[4:5]
	s_and_saveexec_b64 s[4:5], vcc
	s_cbranch_execnz .LBB30_42
.LBB30_39:                              ;   in Loop: Header=BB30_19 Depth=2
	s_or_b64 exec, exec, s[4:5]
	s_and_saveexec_b64 s[4:5], vcc
	s_cbranch_execnz .LBB30_43
.LBB30_40:                              ;   in Loop: Header=BB30_19 Depth=2
	s_or_b64 exec, exec, s[4:5]
	s_and_saveexec_b64 s[4:5], vcc
	s_cbranch_execz .LBB30_18
	s_branch .LBB30_44
.LBB30_41:                              ;   in Loop: Header=BB30_19 Depth=2
	buffer_load_dword v38, off, s[44:47], 0 ; 4-byte Folded Reload
	buffer_load_dword v39, off, s[44:47], 0 offset:4 ; 4-byte Folded Reload
	buffer_load_dword v40, off, s[44:47], 0 offset:8 ; 4-byte Folded Reload
	;; [unrolled: 1-line block ×3, first 2 shown]
	s_waitcnt vmcnt(3)
	v_and_b32_e32 v67, 0xffff0000, v38
	v_lshlrev_b32_e32 v66, 16, v38
	buffer_load_dword v38, off, s[44:47], 0 offset:140 ; 4-byte Folded Reload
	s_waitcnt vmcnt(3)
	v_and_b32_e32 v69, 0xffff0000, v39
	v_lshlrev_b32_e32 v68, 16, v39
	v_pk_mul_f32 v[74:75], v[66:67], v[64:65]
	v_pk_mul_f32 v[72:73], v[68:69], v[62:63]
	v_mov_b32_e32 v70, v74
	v_mov_b32_e32 v71, v72
	v_mov_b32_e32 v72, v75
	v_pk_add_f32 v[70:71], v[70:71], v[72:73]
	s_waitcnt vmcnt(1)
	v_and_b32_e32 v73, 0xffff0000, v41
	v_lshlrev_b32_e32 v72, 16, v41
	v_pk_mul_f32 v[76:77], v[72:73], v[84:85]
	v_mov_b32_e32 v75, v76
	v_pk_mul_f32 v[82:83], v[66:67], v[124:125]
	v_mov_b32_e32 v44, v82
	v_pk_mul_f32 v[80:81], v[72:73], v[126:127]
	v_pk_mul_f32 v[42:43], v[72:73], v[118:119]
	s_waitcnt vmcnt(0)
	v_add_f32_e32 v38, v38, v70
	v_add_f32_e32 v38, v38, v71
	v_and_b32_e32 v71, 0xffff0000, v40
	v_lshlrev_b32_e32 v70, 16, v40
	v_pk_mul_f32 v[78:79], v[70:71], v[60:61]
	v_mov_b32_e32 v74, v78
	v_mov_b32_e32 v76, v79
	v_pk_add_f32 v[74:75], v[74:75], v[76:77]
	v_add_f32_e32 v38, v38, v74
	v_add_f32_e32 v38, v38, v75
	v_pk_mul_f32 v[74:75], v[66:67], v[0:1]
	buffer_store_dword v38, off, s[44:47], 0 offset:140 ; 4-byte Folded Spill
	v_mov_b32_e32 v45, v74
	v_mov_b32_e32 v74, v83
	v_pk_add_f32 v[44:45], v[44:45], v[74:75]
	buffer_load_dword v74, off, s[44:47], 0 offset:132 ; 4-byte Folded Reload
	buffer_load_dword v75, off, s[44:47], 0 offset:136 ; 4-byte Folded Reload
	v_pk_mul_f32 v[76:77], v[68:69], v[56:57]
	v_pk_mul_f32 v[38:39], v[68:69], v[122:123]
	;; [unrolled: 1-line block ×4, first 2 shown]
	s_waitcnt vmcnt(0)
	v_pk_add_f32 v[44:45], v[74:75], v[44:45]
	v_mov_b32_e32 v74, v38
	v_mov_b32_e32 v75, v76
	v_mov_b32_e32 v76, v39
	v_pk_add_f32 v[38:39], v[74:75], v[76:77]
	v_pk_add_f32 v[38:39], v[44:45], v[38:39]
	v_mov_b32_e32 v44, v40
	v_mov_b32_e32 v45, v78
	v_mov_b32_e32 v78, v41
	v_pk_add_f32 v[40:41], v[44:45], v[78:79]
	;; [unrolled: 5-line block ×3, first 2 shown]
	v_pk_add_f32 v[38:39], v[38:39], v[40:41]
	buffer_store_dword v38, off, s[44:47], 0 offset:132 ; 4-byte Folded Spill
	s_nop 0
	buffer_store_dword v39, off, s[44:47], 0 offset:136 ; 4-byte Folded Spill
	v_pk_mul_f32 v[38:39], v[66:67], v[116:117]
	v_pk_mul_f32 v[74:75], v[66:67], v[108:109]
	v_mov_b32_e32 v82, v74
	v_mov_b32_e32 v83, v38
	v_mov_b32_e32 v38, v75
	buffer_load_dword v74, off, s[44:47], 0 offset:124 ; 4-byte Folded Reload
	buffer_load_dword v75, off, s[44:47], 0 offset:128 ; 4-byte Folded Reload
	v_pk_mul_f32 v[40:41], v[68:69], v[114:115]
	v_pk_mul_f32 v[76:77], v[68:69], v[106:107]
	v_pk_add_f32 v[38:39], v[82:83], v[38:39]
	v_pk_mul_f32 v[42:43], v[70:71], v[112:113]
	v_pk_mul_f32 v[78:79], v[70:71], v[104:105]
	;; [unrolled: 1-line block ×4, first 2 shown]
	s_waitcnt vmcnt(0)
	v_pk_add_f32 v[38:39], v[74:75], v[38:39]
	v_mov_b32_e32 v74, v76
	v_mov_b32_e32 v75, v40
	v_mov_b32_e32 v40, v77
	v_pk_add_f32 v[40:41], v[74:75], v[40:41]
	v_pk_add_f32 v[38:39], v[38:39], v[40:41]
	v_mov_b32_e32 v40, v78
	v_mov_b32_e32 v41, v42
	v_mov_b32_e32 v42, v79
	v_pk_add_f32 v[40:41], v[40:41], v[42:43]
	;; [unrolled: 5-line block ×3, first 2 shown]
	v_pk_add_f32 v[38:39], v[38:39], v[40:41]
	buffer_store_dword v38, off, s[44:47], 0 offset:124 ; 4-byte Folded Spill
	s_nop 0
	buffer_store_dword v39, off, s[44:47], 0 offset:128 ; 4-byte Folded Spill
	v_pk_mul_f32 v[38:39], v[66:67], v[100:101]
	v_pk_mul_f32 v[66:67], v[66:67], v[92:93]
	v_mov_b32_e32 v74, v66
	v_mov_b32_e32 v75, v38
	;; [unrolled: 1-line block ×3, first 2 shown]
	buffer_load_dword v66, off, s[44:47], 0 offset:116 ; 4-byte Folded Reload
	buffer_load_dword v67, off, s[44:47], 0 offset:120 ; 4-byte Folded Reload
	v_pk_mul_f32 v[40:41], v[68:69], v[98:99]
	v_pk_mul_f32 v[68:69], v[68:69], v[90:91]
	v_pk_add_f32 v[38:39], v[74:75], v[38:39]
	v_pk_mul_f32 v[42:43], v[70:71], v[96:97]
	v_pk_mul_f32 v[70:71], v[70:71], v[88:89]
	;; [unrolled: 1-line block ×4, first 2 shown]
	s_waitcnt vmcnt(0)
	v_pk_add_f32 v[38:39], v[66:67], v[38:39]
	v_mov_b32_e32 v66, v68
	v_mov_b32_e32 v67, v40
	v_mov_b32_e32 v40, v69
	v_pk_add_f32 v[40:41], v[66:67], v[40:41]
	v_pk_add_f32 v[38:39], v[38:39], v[40:41]
	v_mov_b32_e32 v40, v70
	v_mov_b32_e32 v41, v42
	v_mov_b32_e32 v42, v71
	v_pk_add_f32 v[40:41], v[40:41], v[42:43]
	;; [unrolled: 5-line block ×3, first 2 shown]
	v_pk_add_f32 v[38:39], v[38:39], v[40:41]
	buffer_store_dword v38, off, s[44:47], 0 offset:116 ; 4-byte Folded Spill
	s_nop 0
	buffer_store_dword v39, off, s[44:47], 0 offset:120 ; 4-byte Folded Spill
	s_or_b64 exec, exec, s[4:5]
	s_and_saveexec_b64 s[4:5], vcc
	s_cbranch_execz .LBB30_39
.LBB30_42:                              ;   in Loop: Header=BB30_19 Depth=2
	buffer_load_dword v72, off, s[44:47], 0 offset:16 ; 4-byte Folded Reload
	buffer_load_dword v73, off, s[44:47], 0 offset:20 ; 4-byte Folded Reload
	;; [unrolled: 1-line block ×4, first 2 shown]
	s_waitcnt vmcnt(3)
	v_and_b32_e32 v67, 0xffff0000, v72
	v_lshlrev_b32_e32 v66, 16, v72
	s_waitcnt vmcnt(2)
	v_and_b32_e32 v69, 0xffff0000, v73
	v_lshlrev_b32_e32 v68, 16, v73
	v_pk_mul_f32 v[38:39], v[66:67], v[64:65]
	v_pk_mul_f32 v[40:41], v[68:69], v[62:63]
	v_mov_b32_e32 v42, v38
	v_mov_b32_e32 v43, v40
	;; [unrolled: 1-line block ×3, first 2 shown]
	v_pk_add_f32 v[38:39], v[42:43], v[40:41]
	buffer_load_dword v40, off, s[44:47], 0 offset:112 ; 4-byte Folded Reload
	s_waitcnt vmcnt(2)
	v_and_b32_e32 v71, 0xffff0000, v74
	v_lshlrev_b32_e32 v70, 16, v74
	s_waitcnt vmcnt(1)
	v_and_b32_e32 v73, 0xffff0000, v75
	v_lshlrev_b32_e32 v72, 16, v75
	v_pk_mul_f32 v[74:75], v[66:67], v[124:125]
	v_mov_b32_e32 v82, v74
	v_pk_mul_f32 v[76:77], v[68:69], v[122:123]
	v_pk_mul_f32 v[78:79], v[70:71], v[120:121]
	;; [unrolled: 1-line block ×3, first 2 shown]
	s_waitcnt vmcnt(0)
	v_add_f32_e32 v38, v40, v38
	v_add_f32_e32 v44, v38, v39
	v_pk_mul_f32 v[38:39], v[70:71], v[60:61]
	v_pk_mul_f32 v[40:41], v[72:73], v[84:85]
	v_mov_b32_e32 v42, v38
	v_mov_b32_e32 v43, v40
	;; [unrolled: 1-line block ×3, first 2 shown]
	v_pk_add_f32 v[38:39], v[42:43], v[40:41]
	v_add_f32_e32 v38, v44, v38
	v_add_f32_e32 v38, v38, v39
	buffer_store_dword v38, off, s[44:47], 0 offset:112 ; 4-byte Folded Spill
	v_pk_mul_f32 v[38:39], v[66:67], v[0:1]
	v_mov_b32_e32 v83, v38
	v_mov_b32_e32 v38, v75
	buffer_load_dword v74, off, s[44:47], 0 offset:104 ; 4-byte Folded Reload
	buffer_load_dword v75, off, s[44:47], 0 offset:108 ; 4-byte Folded Reload
	v_pk_mul_f32 v[40:41], v[68:69], v[56:57]
	v_pk_add_f32 v[38:39], v[82:83], v[38:39]
	v_pk_mul_f32 v[42:43], v[70:71], v[54:55]
	v_pk_mul_f32 v[44:45], v[72:73], v[126:127]
	s_waitcnt vmcnt(0)
	v_pk_add_f32 v[38:39], v[74:75], v[38:39]
	v_mov_b32_e32 v74, v76
	v_mov_b32_e32 v75, v40
	v_mov_b32_e32 v40, v77
	v_pk_add_f32 v[40:41], v[74:75], v[40:41]
	v_pk_add_f32 v[38:39], v[38:39], v[40:41]
	v_mov_b32_e32 v40, v78
	v_mov_b32_e32 v41, v42
	v_mov_b32_e32 v42, v79
	v_pk_add_f32 v[40:41], v[40:41], v[42:43]
	;; [unrolled: 5-line block ×3, first 2 shown]
	v_pk_add_f32 v[38:39], v[38:39], v[40:41]
	buffer_store_dword v38, off, s[44:47], 0 offset:104 ; 4-byte Folded Spill
	s_nop 0
	buffer_store_dword v39, off, s[44:47], 0 offset:108 ; 4-byte Folded Spill
	v_pk_mul_f32 v[38:39], v[66:67], v[116:117]
	v_pk_mul_f32 v[74:75], v[66:67], v[108:109]
	v_mov_b32_e32 v82, v74
	v_mov_b32_e32 v83, v38
	;; [unrolled: 1-line block ×3, first 2 shown]
	buffer_load_dword v74, off, s[44:47], 0 offset:96 ; 4-byte Folded Reload
	buffer_load_dword v75, off, s[44:47], 0 offset:100 ; 4-byte Folded Reload
	v_pk_mul_f32 v[40:41], v[68:69], v[114:115]
	v_pk_mul_f32 v[76:77], v[68:69], v[106:107]
	v_pk_add_f32 v[38:39], v[82:83], v[38:39]
	v_pk_mul_f32 v[42:43], v[70:71], v[112:113]
	v_pk_mul_f32 v[78:79], v[70:71], v[104:105]
	v_pk_mul_f32 v[44:45], v[72:73], v[110:111]
	v_pk_mul_f32 v[80:81], v[72:73], v[102:103]
	s_waitcnt vmcnt(0)
	v_pk_add_f32 v[38:39], v[74:75], v[38:39]
	v_mov_b32_e32 v74, v76
	v_mov_b32_e32 v75, v40
	v_mov_b32_e32 v40, v77
	v_pk_add_f32 v[40:41], v[74:75], v[40:41]
	v_pk_add_f32 v[38:39], v[38:39], v[40:41]
	v_mov_b32_e32 v40, v78
	v_mov_b32_e32 v41, v42
	v_mov_b32_e32 v42, v79
	v_pk_add_f32 v[40:41], v[40:41], v[42:43]
	v_pk_add_f32 v[38:39], v[38:39], v[40:41]
	v_mov_b32_e32 v40, v80
	v_mov_b32_e32 v41, v44
	v_mov_b32_e32 v44, v81
	v_pk_add_f32 v[40:41], v[40:41], v[44:45]
	v_pk_add_f32 v[38:39], v[38:39], v[40:41]
	buffer_store_dword v38, off, s[44:47], 0 offset:96 ; 4-byte Folded Spill
	s_nop 0
	buffer_store_dword v39, off, s[44:47], 0 offset:100 ; 4-byte Folded Spill
	v_pk_mul_f32 v[38:39], v[66:67], v[100:101]
	v_pk_mul_f32 v[66:67], v[66:67], v[92:93]
	v_mov_b32_e32 v74, v66
	v_mov_b32_e32 v75, v38
	;; [unrolled: 1-line block ×3, first 2 shown]
	buffer_load_dword v66, off, s[44:47], 0 offset:88 ; 4-byte Folded Reload
	buffer_load_dword v67, off, s[44:47], 0 offset:92 ; 4-byte Folded Reload
	v_pk_mul_f32 v[40:41], v[68:69], v[98:99]
	v_pk_mul_f32 v[68:69], v[68:69], v[90:91]
	v_pk_add_f32 v[38:39], v[74:75], v[38:39]
	v_pk_mul_f32 v[42:43], v[70:71], v[96:97]
	v_pk_mul_f32 v[70:71], v[70:71], v[88:89]
	;; [unrolled: 1-line block ×4, first 2 shown]
	s_waitcnt vmcnt(0)
	v_pk_add_f32 v[38:39], v[66:67], v[38:39]
	v_mov_b32_e32 v66, v68
	v_mov_b32_e32 v67, v40
	v_mov_b32_e32 v40, v69
	v_pk_add_f32 v[40:41], v[66:67], v[40:41]
	v_pk_add_f32 v[38:39], v[38:39], v[40:41]
	v_mov_b32_e32 v40, v70
	v_mov_b32_e32 v41, v42
	v_mov_b32_e32 v42, v71
	v_pk_add_f32 v[40:41], v[40:41], v[42:43]
	v_pk_add_f32 v[38:39], v[38:39], v[40:41]
	v_mov_b32_e32 v40, v72
	v_mov_b32_e32 v41, v44
	v_mov_b32_e32 v44, v73
	v_pk_add_f32 v[40:41], v[40:41], v[44:45]
	v_pk_add_f32 v[38:39], v[38:39], v[40:41]
	buffer_store_dword v38, off, s[44:47], 0 offset:88 ; 4-byte Folded Spill
	s_nop 0
	buffer_store_dword v39, off, s[44:47], 0 offset:92 ; 4-byte Folded Spill
	s_or_b64 exec, exec, s[4:5]
	s_and_saveexec_b64 s[4:5], vcc
	s_cbranch_execz .LBB30_40
.LBB30_43:                              ;   in Loop: Header=BB30_19 Depth=2
	s_waitcnt lgkmcnt(0)
	v_and_b32_e32 v67, 0xffff0000, v46
	v_lshlrev_b32_e32 v66, 16, v46
	v_and_b32_e32 v69, 0xffff0000, v47
	v_lshlrev_b32_e32 v68, 16, v47
	v_pk_mul_f32 v[38:39], v[66:67], v[64:65]
	v_pk_mul_f32 v[40:41], v[68:69], v[62:63]
	v_mov_b32_e32 v42, v38
	v_mov_b32_e32 v43, v40
	;; [unrolled: 1-line block ×3, first 2 shown]
	v_pk_add_f32 v[38:39], v[42:43], v[40:41]
	buffer_load_dword v40, off, s[44:47], 0 offset:84 ; 4-byte Folded Reload
	v_and_b32_e32 v71, 0xffff0000, v48
	v_lshlrev_b32_e32 v70, 16, v48
	v_and_b32_e32 v73, 0xffff0000, v49
	v_lshlrev_b32_e32 v72, 16, v49
	v_pk_mul_f32 v[74:75], v[66:67], v[124:125]
	v_mov_b32_e32 v82, v74
	v_pk_mul_f32 v[76:77], v[68:69], v[122:123]
	v_pk_mul_f32 v[78:79], v[70:71], v[120:121]
	;; [unrolled: 1-line block ×3, first 2 shown]
	s_waitcnt vmcnt(0)
	v_add_f32_e32 v38, v40, v38
	v_add_f32_e32 v44, v38, v39
	v_pk_mul_f32 v[38:39], v[70:71], v[60:61]
	v_pk_mul_f32 v[40:41], v[72:73], v[84:85]
	v_mov_b32_e32 v42, v38
	v_mov_b32_e32 v43, v40
	;; [unrolled: 1-line block ×3, first 2 shown]
	v_pk_add_f32 v[38:39], v[42:43], v[40:41]
	v_add_f32_e32 v38, v44, v38
	v_add_f32_e32 v38, v38, v39
	buffer_store_dword v38, off, s[44:47], 0 offset:84 ; 4-byte Folded Spill
	v_pk_mul_f32 v[38:39], v[66:67], v[0:1]
	v_mov_b32_e32 v83, v38
	v_mov_b32_e32 v38, v75
	buffer_load_dword v74, off, s[44:47], 0 offset:76 ; 4-byte Folded Reload
	buffer_load_dword v75, off, s[44:47], 0 offset:80 ; 4-byte Folded Reload
	v_pk_mul_f32 v[40:41], v[68:69], v[56:57]
	v_pk_add_f32 v[38:39], v[82:83], v[38:39]
	v_pk_mul_f32 v[42:43], v[70:71], v[54:55]
	v_pk_mul_f32 v[44:45], v[72:73], v[126:127]
	s_waitcnt vmcnt(0)
	v_pk_add_f32 v[38:39], v[74:75], v[38:39]
	v_mov_b32_e32 v74, v76
	v_mov_b32_e32 v75, v40
	v_mov_b32_e32 v40, v77
	v_pk_add_f32 v[40:41], v[74:75], v[40:41]
	v_pk_add_f32 v[38:39], v[38:39], v[40:41]
	v_mov_b32_e32 v40, v78
	v_mov_b32_e32 v41, v42
	v_mov_b32_e32 v42, v79
	v_pk_add_f32 v[40:41], v[40:41], v[42:43]
	;; [unrolled: 5-line block ×3, first 2 shown]
	v_pk_add_f32 v[38:39], v[38:39], v[40:41]
	buffer_store_dword v38, off, s[44:47], 0 offset:76 ; 4-byte Folded Spill
	s_nop 0
	buffer_store_dword v39, off, s[44:47], 0 offset:80 ; 4-byte Folded Spill
	v_pk_mul_f32 v[38:39], v[66:67], v[116:117]
	v_pk_mul_f32 v[74:75], v[66:67], v[108:109]
	v_mov_b32_e32 v82, v74
	v_mov_b32_e32 v83, v38
	;; [unrolled: 1-line block ×3, first 2 shown]
	buffer_load_dword v74, off, s[44:47], 0 offset:68 ; 4-byte Folded Reload
	buffer_load_dword v75, off, s[44:47], 0 offset:72 ; 4-byte Folded Reload
	v_pk_mul_f32 v[40:41], v[68:69], v[114:115]
	v_pk_mul_f32 v[76:77], v[68:69], v[106:107]
	v_pk_add_f32 v[38:39], v[82:83], v[38:39]
	v_pk_mul_f32 v[42:43], v[70:71], v[112:113]
	v_pk_mul_f32 v[78:79], v[70:71], v[104:105]
	;; [unrolled: 1-line block ×4, first 2 shown]
	s_waitcnt vmcnt(0)
	v_pk_add_f32 v[38:39], v[74:75], v[38:39]
	v_mov_b32_e32 v74, v76
	v_mov_b32_e32 v75, v40
	v_mov_b32_e32 v40, v77
	v_pk_add_f32 v[40:41], v[74:75], v[40:41]
	v_pk_add_f32 v[38:39], v[38:39], v[40:41]
	v_mov_b32_e32 v40, v78
	v_mov_b32_e32 v41, v42
	v_mov_b32_e32 v42, v79
	v_pk_add_f32 v[40:41], v[40:41], v[42:43]
	;; [unrolled: 5-line block ×3, first 2 shown]
	v_pk_add_f32 v[38:39], v[38:39], v[40:41]
	buffer_store_dword v38, off, s[44:47], 0 offset:68 ; 4-byte Folded Spill
	s_nop 0
	buffer_store_dword v39, off, s[44:47], 0 offset:72 ; 4-byte Folded Spill
	v_pk_mul_f32 v[38:39], v[66:67], v[100:101]
	v_pk_mul_f32 v[66:67], v[66:67], v[92:93]
	v_mov_b32_e32 v74, v66
	v_mov_b32_e32 v75, v38
	;; [unrolled: 1-line block ×3, first 2 shown]
	buffer_load_dword v66, off, s[44:47], 0 offset:60 ; 4-byte Folded Reload
	buffer_load_dword v67, off, s[44:47], 0 offset:64 ; 4-byte Folded Reload
	v_pk_mul_f32 v[40:41], v[68:69], v[98:99]
	v_pk_mul_f32 v[68:69], v[68:69], v[90:91]
	v_pk_add_f32 v[38:39], v[74:75], v[38:39]
	v_pk_mul_f32 v[42:43], v[70:71], v[96:97]
	v_pk_mul_f32 v[70:71], v[70:71], v[88:89]
	;; [unrolled: 1-line block ×4, first 2 shown]
	s_waitcnt vmcnt(0)
	v_pk_add_f32 v[38:39], v[66:67], v[38:39]
	v_mov_b32_e32 v66, v68
	v_mov_b32_e32 v67, v40
	v_mov_b32_e32 v40, v69
	v_pk_add_f32 v[40:41], v[66:67], v[40:41]
	v_pk_add_f32 v[38:39], v[38:39], v[40:41]
	v_mov_b32_e32 v40, v70
	v_mov_b32_e32 v41, v42
	v_mov_b32_e32 v42, v71
	v_pk_add_f32 v[40:41], v[40:41], v[42:43]
	;; [unrolled: 5-line block ×3, first 2 shown]
	v_pk_add_f32 v[38:39], v[38:39], v[40:41]
	buffer_store_dword v38, off, s[44:47], 0 offset:60 ; 4-byte Folded Spill
	s_nop 0
	buffer_store_dword v39, off, s[44:47], 0 offset:64 ; 4-byte Folded Spill
	s_or_b64 exec, exec, s[4:5]
	s_and_saveexec_b64 s[4:5], vcc
	s_cbranch_execz .LBB30_18
.LBB30_44:                              ;   in Loop: Header=BB30_19 Depth=2
	s_waitcnt lgkmcnt(0)
	v_and_b32_e32 v67, 0xffff0000, v50
	v_lshlrev_b32_e32 v66, 16, v50
	v_pk_mul_f32 v[38:39], v[66:67], v[64:65]
	v_and_b32_e32 v65, 0xffff0000, v51
	v_lshlrev_b32_e32 v64, 16, v51
	v_pk_mul_f32 v[40:41], v[64:65], v[62:63]
	v_mov_b32_e32 v42, v38
	v_mov_b32_e32 v43, v40
	;; [unrolled: 1-line block ×3, first 2 shown]
	v_pk_add_f32 v[38:39], v[42:43], v[40:41]
	buffer_load_dword v40, off, s[44:47], 0 offset:56 ; 4-byte Folded Reload
	v_and_b32_e32 v63, 0xffff0000, v52
	v_lshlrev_b32_e32 v62, 16, v52
	v_pk_mul_f32 v[0:1], v[66:67], v[0:1]
	v_mov_b32_e32 v71, v0
	s_waitcnt vmcnt(0)
	v_add_f32_e32 v38, v40, v38
	v_add_f32_e32 v44, v38, v39
	v_pk_mul_f32 v[38:39], v[62:63], v[60:61]
	v_and_b32_e32 v61, 0xffff0000, v53
	v_lshlrev_b32_e32 v60, 16, v53
	v_pk_mul_f32 v[40:41], v[60:61], v[84:85]
	v_mov_b32_e32 v42, v38
	v_mov_b32_e32 v43, v40
	;; [unrolled: 1-line block ×3, first 2 shown]
	v_pk_add_f32 v[38:39], v[42:43], v[40:41]
	v_add_f32_e32 v38, v44, v38
	v_add_f32_e32 v38, v38, v39
	buffer_store_dword v38, off, s[44:47], 0 offset:56 ; 4-byte Folded Spill
	v_pk_mul_f32 v[44:45], v[66:67], v[124:125]
	v_mov_b32_e32 v70, v44
	v_mov_b32_e32 v0, v45
	buffer_load_dword v44, off, s[44:47], 0 offset:48 ; 4-byte Folded Reload
	buffer_load_dword v45, off, s[44:47], 0 offset:52 ; 4-byte Folded Reload
	v_pk_mul_f32 v[38:39], v[64:65], v[56:57]
	v_pk_mul_f32 v[40:41], v[62:63], v[54:55]
	;; [unrolled: 1-line block ×3, first 2 shown]
	v_pk_add_f32 v[0:1], v[70:71], v[0:1]
	v_pk_mul_f32 v[56:57], v[62:63], v[120:121]
	v_pk_mul_f32 v[42:43], v[60:61], v[126:127]
	;; [unrolled: 1-line block ×3, first 2 shown]
	s_waitcnt vmcnt(0)
	v_pk_add_f32 v[0:1], v[44:45], v[0:1]
	v_mov_b32_e32 v44, v54
	v_mov_b32_e32 v45, v38
	v_mov_b32_e32 v38, v55
	v_pk_add_f32 v[38:39], v[44:45], v[38:39]
	v_pk_add_f32 v[0:1], v[0:1], v[38:39]
	v_mov_b32_e32 v38, v56
	v_mov_b32_e32 v39, v40
	v_mov_b32_e32 v40, v57
	v_pk_add_f32 v[38:39], v[38:39], v[40:41]
	;; [unrolled: 5-line block ×3, first 2 shown]
	v_pk_add_f32 v[0:1], v[0:1], v[38:39]
	buffer_store_dword v0, off, s[44:47], 0 offset:48 ; 4-byte Folded Spill
	s_nop 0
	buffer_store_dword v1, off, s[44:47], 0 offset:52 ; 4-byte Folded Spill
	v_pk_mul_f32 v[0:1], v[66:67], v[116:117]
	v_pk_mul_f32 v[44:45], v[66:67], v[108:109]
	v_mov_b32_e32 v70, v44
	v_mov_b32_e32 v71, v0
	v_mov_b32_e32 v0, v45
	buffer_load_dword v44, off, s[44:47], 0 offset:40 ; 4-byte Folded Reload
	buffer_load_dword v45, off, s[44:47], 0 offset:44 ; 4-byte Folded Reload
	v_pk_mul_f32 v[38:39], v[64:65], v[114:115]
	v_pk_mul_f32 v[54:55], v[64:65], v[106:107]
	v_pk_add_f32 v[0:1], v[70:71], v[0:1]
	v_pk_mul_f32 v[40:41], v[62:63], v[112:113]
	v_pk_mul_f32 v[56:57], v[62:63], v[104:105]
	;; [unrolled: 1-line block ×4, first 2 shown]
	s_waitcnt vmcnt(0)
	v_pk_add_f32 v[0:1], v[44:45], v[0:1]
	v_mov_b32_e32 v44, v54
	v_mov_b32_e32 v45, v38
	v_mov_b32_e32 v38, v55
	v_pk_add_f32 v[38:39], v[44:45], v[38:39]
	v_pk_add_f32 v[0:1], v[0:1], v[38:39]
	v_mov_b32_e32 v38, v56
	v_mov_b32_e32 v39, v40
	v_mov_b32_e32 v40, v57
	v_pk_add_f32 v[38:39], v[38:39], v[40:41]
	;; [unrolled: 5-line block ×3, first 2 shown]
	v_pk_add_f32 v[0:1], v[0:1], v[38:39]
	buffer_store_dword v0, off, s[44:47], 0 offset:40 ; 4-byte Folded Spill
	s_nop 0
	buffer_store_dword v1, off, s[44:47], 0 offset:44 ; 4-byte Folded Spill
	v_pk_mul_f32 v[0:1], v[66:67], v[100:101]
	v_pk_mul_f32 v[44:45], v[66:67], v[92:93]
	;; [unrolled: 1-line block ×4, first 2 shown]
	v_mov_b32_e32 v62, v44
	v_mov_b32_e32 v63, v0
	;; [unrolled: 1-line block ×3, first 2 shown]
	buffer_load_dword v44, off, s[44:47], 0 offset:32 ; 4-byte Folded Reload
	buffer_load_dword v45, off, s[44:47], 0 offset:36 ; 4-byte Folded Reload
	v_pk_mul_f32 v[38:39], v[64:65], v[98:99]
	v_pk_mul_f32 v[54:55], v[64:65], v[90:91]
	v_pk_add_f32 v[0:1], v[62:63], v[0:1]
	v_pk_mul_f32 v[42:43], v[60:61], v[94:95]
	v_pk_mul_f32 v[60:61], v[60:61], v[86:87]
	s_waitcnt vmcnt(0)
	v_pk_add_f32 v[0:1], v[44:45], v[0:1]
	v_mov_b32_e32 v44, v54
	v_mov_b32_e32 v45, v38
	v_mov_b32_e32 v38, v55
	v_pk_add_f32 v[38:39], v[44:45], v[38:39]
	v_pk_add_f32 v[0:1], v[0:1], v[38:39]
	v_mov_b32_e32 v38, v56
	v_mov_b32_e32 v39, v40
	v_mov_b32_e32 v40, v57
	v_pk_add_f32 v[38:39], v[38:39], v[40:41]
	;; [unrolled: 5-line block ×3, first 2 shown]
	v_pk_add_f32 v[0:1], v[0:1], v[38:39]
	buffer_store_dword v0, off, s[44:47], 0 offset:32 ; 4-byte Folded Spill
	s_nop 0
	buffer_store_dword v1, off, s[44:47], 0 offset:36 ; 4-byte Folded Spill
	s_branch .LBB30_18
.LBB30_45:                              ;   in Loop: Header=BB30_16 Depth=1
	v_mov_b32_e32 v1, v59
	v_mov_b32_e32 v0, v59
	buffer_store_dword v0, off, s[44:47], 0 offset:48 ; 4-byte Folded Spill
	s_nop 0
	buffer_store_dword v1, off, s[44:47], 0 offset:52 ; 4-byte Folded Spill
	buffer_store_dword v0, off, s[44:47], 0 offset:40 ; 4-byte Folded Spill
	s_nop 0
	buffer_store_dword v1, off, s[44:47], 0 offset:44 ; 4-byte Folded Spill
	buffer_store_dword v0, off, s[44:47], 0 offset:32 ; 4-byte Folded Spill
	s_nop 0
	buffer_store_dword v1, off, s[44:47], 0 offset:36 ; 4-byte Folded Spill
	buffer_store_dword v0, off, s[44:47], 0 offset:76 ; 4-byte Folded Spill
	s_nop 0
	buffer_store_dword v1, off, s[44:47], 0 offset:80 ; 4-byte Folded Spill
	buffer_store_dword v0, off, s[44:47], 0 offset:68 ; 4-byte Folded Spill
	s_nop 0
	buffer_store_dword v1, off, s[44:47], 0 offset:72 ; 4-byte Folded Spill
	buffer_store_dword v0, off, s[44:47], 0 offset:60 ; 4-byte Folded Spill
	s_nop 0
	buffer_store_dword v1, off, s[44:47], 0 offset:64 ; 4-byte Folded Spill
	buffer_store_dword v0, off, s[44:47], 0 offset:104 ; 4-byte Folded Spill
	s_nop 0
	buffer_store_dword v1, off, s[44:47], 0 offset:108 ; 4-byte Folded Spill
	buffer_store_dword v0, off, s[44:47], 0 offset:96 ; 4-byte Folded Spill
	s_nop 0
	buffer_store_dword v1, off, s[44:47], 0 offset:100 ; 4-byte Folded Spill
	buffer_store_dword v0, off, s[44:47], 0 offset:88 ; 4-byte Folded Spill
	s_nop 0
	buffer_store_dword v1, off, s[44:47], 0 offset:92 ; 4-byte Folded Spill
	buffer_store_dword v0, off, s[44:47], 0 offset:132 ; 4-byte Folded Spill
	s_nop 0
	buffer_store_dword v1, off, s[44:47], 0 offset:136 ; 4-byte Folded Spill
	buffer_store_dword v0, off, s[44:47], 0 offset:124 ; 4-byte Folded Spill
	s_nop 0
	buffer_store_dword v1, off, s[44:47], 0 offset:128 ; 4-byte Folded Spill
	buffer_store_dword v0, off, s[44:47], 0 offset:116 ; 4-byte Folded Spill
	s_nop 0
	buffer_store_dword v1, off, s[44:47], 0 offset:120 ; 4-byte Folded Spill
	buffer_store_dword v0, off, s[44:47], 0 offset:140 ; 4-byte Folded Spill
	buffer_store_dword v0, off, s[44:47], 0 offset:112 ; 4-byte Folded Spill
	;; [unrolled: 1-line block ×4, first 2 shown]
.LBB30_46:                              ;   in Loop: Header=BB30_16 Depth=1
	buffer_load_dword v1, off, s[44:47], 0 offset:140 ; 4-byte Folded Reload
	buffer_load_dword v76, off, s[44:47], 0 offset:132 ; 4-byte Folded Reload
	;; [unrolled: 1-line block ×28, first 2 shown]
	s_waitcnt vmcnt(27)
	;;#ASMSTART
	s_nop 0
	v_add_f32 v1, v1, v1 row_shr:8 bound_ctrl:0 
	;;#ASMEND
	s_waitcnt vmcnt(20)
	;;#ASMSTART
	s_nop 0
	v_add_f32 v70, v70, v70 row_shr:8 bound_ctrl:0 
	;;#ASMEND
	;; [unrolled: 5-line block ×4, first 2 shown]
	;;#ASMSTART
	s_nop 0
	v_add_f32 v1, v1, v1 row_shr:4 bound_ctrl:0 
	;;#ASMEND
	;;#ASMSTART
	s_nop 0
	v_add_f32 v70, v70, v70 row_shr:4 bound_ctrl:0 
	;;#ASMEND
	;; [unrolled: 4-line block ×8, first 2 shown]
	;;#ASMSTART
	s_nop 0
	v_add_f32 v1, v1, v1 wave_shr:1 bound_ctrl:0
	;;#ASMEND
	;;#ASMSTART
	s_nop 0
	v_add_f32 v70, v70, v70 wave_shr:1 bound_ctrl:0
	;;#ASMEND
	;; [unrolled: 4-line block ×4, first 2 shown]
	;;#ASMSTART
	s_nop 0
	v_add_f32 v1, v1, v1 row_bcast:15 bound_ctrl:0
	;;#ASMEND
	;;#ASMSTART
	s_nop 0
	v_add_f32 v70, v70, v70 row_bcast:15 bound_ctrl:0
	;;#ASMEND
	;; [unrolled: 4-line block ×8, first 2 shown]
	;;#ASMSTART
	s_nop 0
	v_add_f32 v77, v77, v77 row_shr:8 bound_ctrl:0 
	;;#ASMEND
	;;#ASMSTART
	s_nop 0
	v_add_f32 v76, v76, v76 row_shr:8 bound_ctrl:0 
	;;#ASMEND
	;; [unrolled: 4-line block ×18, first 2 shown]
	s_waitcnt vmcnt(4)
	;;#ASMSTART
	s_nop 0
	v_add_f32 v55, v55, v55 row_shr:8 bound_ctrl:0 
	;;#ASMEND
	;;#ASMSTART
	s_nop 0
	v_add_f32 v54, v54, v54 row_shr:8 bound_ctrl:0 
	;;#ASMEND
	s_waitcnt vmcnt(2)
	;;#ASMSTART
	s_nop 0
	v_add_f32 v45, v45, v45 row_shr:8 bound_ctrl:0 
	;;#ASMEND
	;;#ASMSTART
	s_nop 0
	v_add_f32 v44, v44, v44 row_shr:8 bound_ctrl:0 
	;;#ASMEND
	s_waitcnt vmcnt(0)
	;;#ASMSTART
	s_nop 0
	v_add_f32 v43, v43, v43 row_shr:8 bound_ctrl:0 
	;;#ASMEND
	;;#ASMSTART
	s_nop 0
	v_add_f32 v42, v42, v42 row_shr:8 bound_ctrl:0 
	;;#ASMEND
	;;#ASMSTART
	s_nop 0
	v_add_f32 v77, v77, v77 row_shr:4 bound_ctrl:0 
	;;#ASMEND
	;;#ASMSTART
	s_nop 0
	v_add_f32 v76, v76, v76 row_shr:4 bound_ctrl:0 
	;;#ASMEND
	;; [unrolled: 4-line block ×48, first 2 shown]
	;;#ASMSTART
	s_nop 0
	v_add_f32 v77, v77, v77 wave_shr:1 bound_ctrl:0
	;;#ASMEND
	;;#ASMSTART
	s_nop 0
	v_add_f32 v76, v76, v76 wave_shr:1 bound_ctrl:0
	;;#ASMEND
	;; [unrolled: 4-line block ×24, first 2 shown]
	;;#ASMSTART
	s_nop 0
	v_add_f32 v77, v77, v77 row_bcast:15 bound_ctrl:0
	;;#ASMEND
	;;#ASMSTART
	s_nop 0
	v_add_f32 v76, v76, v76 row_bcast:15 bound_ctrl:0
	;;#ASMEND
	;; [unrolled: 4-line block ×48, first 2 shown]
	s_and_saveexec_b64 s[30:31], s[0:1]
	s_cbranch_execz .LBB30_215
; %bb.47:                               ;   in Loop: Header=BB30_16 Depth=1
	v_cmp_ne_u32_e32 vcc, 0, v2
	s_and_saveexec_b64 s[6:7], vcc
	s_cbranch_execnz .LBB30_54
; %bb.48:                               ;   in Loop: Header=BB30_16 Depth=1
	s_or_b64 exec, exec, s[6:7]
	v_cmp_ne_u32_e64 s[4:5], 0, v3
	s_and_saveexec_b64 s[8:9], s[4:5]
	s_cbranch_execnz .LBB30_59
.LBB30_49:                              ;   in Loop: Header=BB30_16 Depth=1
	s_or_b64 exec, exec, s[8:9]
	v_cmp_ne_u32_e64 s[6:7], 0, v4
	s_and_saveexec_b64 s[10:11], s[6:7]
	s_cbranch_execnz .LBB30_64
.LBB30_50:                              ;   in Loop: Header=BB30_16 Depth=1
	s_or_b64 exec, exec, s[10:11]
	v_cmp_ne_u32_e64 s[8:9], 0, v5
	s_and_saveexec_b64 s[12:13], s[8:9]
	s_cbranch_execnz .LBB30_69
.LBB30_51:                              ;   in Loop: Header=BB30_16 Depth=1
	s_or_b64 exec, exec, s[12:13]
	v_cmp_ne_u32_e64 s[10:11], 0, v6
	s_and_saveexec_b64 s[14:15], s[10:11]
	s_cbranch_execnz .LBB30_74
.LBB30_52:                              ;   in Loop: Header=BB30_16 Depth=1
	s_or_b64 exec, exec, s[14:15]
	v_cmp_ne_u32_e64 s[12:13], 0, v7
	s_and_saveexec_b64 s[16:17], s[12:13]
	s_cbranch_execnz .LBB30_79
.LBB30_53:                              ;   in Loop: Header=BB30_16 Depth=1
	s_or_b64 exec, exec, s[16:17]
	v_cmp_ne_u32_e64 s[14:15], 0, v8
	s_and_saveexec_b64 s[34:35], s[14:15]
	s_cbranch_execnz .LBB30_84
	s_branch .LBB30_89
.LBB30_54:                              ;   in Loop: Header=BB30_16 Depth=1
	v_and_b32_e32 v0, 0x7f800000, v1
	v_cmp_ne_u32_e64 s[4:5], s43, v0
                                        ; implicit-def: $vgpr0
	s_and_saveexec_b64 s[8:9], s[4:5]
	s_xor_b64 s[4:5], exec, s[8:9]
; %bb.55:                               ;   in Loop: Header=BB30_16 Depth=1
	v_bfe_u32 v0, v1, 16, 1
	v_add3_u32 v0, v1, v0, s42
                                        ; implicit-def: $vgpr1
; %bb.56:                               ;   in Loop: Header=BB30_16 Depth=1
	s_andn2_saveexec_b64 s[8:9], s[4:5]
; %bb.57:                               ;   in Loop: Header=BB30_16 Depth=1
	v_or_b32_e32 v0, 0x10000, v1
	v_cmp_eq_u32_sdwa s[4:5], v1, v59 src0_sel:WORD_0 src1_sel:DWORD
	v_cndmask_b32_e64 v0, v0, v1, s[4:5]
; %bb.58:                               ;   in Loop: Header=BB30_16 Depth=1
	s_or_b64 exec, exec, s[8:9]
	buffer_load_dword v38, off, s[44:47], 0 offset:176 ; 4-byte Folded Reload
	buffer_load_dword v39, off, s[44:47], 0 offset:180 ; 4-byte Folded Reload
	s_waitcnt vmcnt(0)
	v_mov_b32_e32 v39, v59
	s_waitcnt lgkmcnt(0)
	v_mov_b32_e32 v1, s25
	v_mov_b32_e32 v40, v38
	v_lshlrev_b64 v[38:39], 1, v[38:39]
	v_add_co_u32_e64 v38, s[4:5], s24, v38
	v_addc_co_u32_e64 v39, s[4:5], v1, v39, s[4:5]
	buffer_store_dword v40, off, s[44:47], 0 offset:176 ; 4-byte Folded Spill
	s_nop 0
	buffer_store_dword v41, off, s[44:47], 0 offset:180 ; 4-byte Folded Spill
	global_store_short_d16_hi v[38:39], v0, off
	s_or_b64 exec, exec, s[6:7]
	v_cmp_ne_u32_e64 s[4:5], 0, v3
	s_and_saveexec_b64 s[8:9], s[4:5]
	s_cbranch_execz .LBB30_49
.LBB30_59:                              ;   in Loop: Header=BB30_16 Depth=1
	v_and_b32_e32 v0, 0x7f800000, v77
	v_cmp_ne_u32_e64 s[6:7], s43, v0
                                        ; implicit-def: $vgpr0
	s_and_saveexec_b64 s[10:11], s[6:7]
	s_xor_b64 s[6:7], exec, s[10:11]
; %bb.60:                               ;   in Loop: Header=BB30_16 Depth=1
	v_pk_mov_b32 v[0:1], v[76:77], v[76:77] op_sel:[0,1]
	v_bfe_u32 v0, v1, 16, 1
	v_add3_u32 v0, v1, v0, s42
; %bb.61:                               ;   in Loop: Header=BB30_16 Depth=1
	s_andn2_saveexec_b64 s[10:11], s[6:7]
; %bb.62:                               ;   in Loop: Header=BB30_16 Depth=1
	v_pk_mov_b32 v[0:1], v[76:77], v[76:77] op_sel:[0,1]
	v_or_b32_e32 v0, 0x10000, v1
	v_cmp_eq_u32_sdwa s[6:7], v1, v59 src0_sel:WORD_0 src1_sel:DWORD
	v_cndmask_b32_e64 v0, v0, v1, s[6:7]
; %bb.63:                               ;   in Loop: Header=BB30_16 Depth=1
	s_or_b64 exec, exec, s[10:11]
	buffer_load_dword v38, off, s[44:47], 0 offset:176 ; 4-byte Folded Reload
	buffer_load_dword v39, off, s[44:47], 0 offset:180 ; 4-byte Folded Reload
	s_waitcnt lgkmcnt(0)
	v_mov_b32_e32 v1, s25
	s_waitcnt vmcnt(1)
	v_add_u32_e32 v58, 1, v38
	s_waitcnt vmcnt(0)
	v_lshlrev_b64 v[38:39], 1, v[58:59]
	v_add_co_u32_e64 v38, s[6:7], s24, v38
	v_addc_co_u32_e64 v39, s[6:7], v1, v39, s[6:7]
	global_store_short_d16_hi v[38:39], v0, off
	s_or_b64 exec, exec, s[8:9]
	v_cmp_ne_u32_e64 s[6:7], 0, v4
	s_and_saveexec_b64 s[10:11], s[6:7]
	s_cbranch_execz .LBB30_50
.LBB30_64:                              ;   in Loop: Header=BB30_16 Depth=1
	v_and_b32_e32 v0, 0x7f800000, v76
	v_cmp_ne_u32_e64 s[8:9], s43, v0
                                        ; implicit-def: $vgpr0
	s_and_saveexec_b64 s[12:13], s[8:9]
	s_xor_b64 s[8:9], exec, s[12:13]
; %bb.65:                               ;   in Loop: Header=BB30_16 Depth=1
	v_bfe_u32 v0, v76, 16, 1
	v_add3_u32 v0, v76, v0, s42
                                        ; implicit-def: $vgpr76
; %bb.66:                               ;   in Loop: Header=BB30_16 Depth=1
	s_andn2_saveexec_b64 s[12:13], s[8:9]
; %bb.67:                               ;   in Loop: Header=BB30_16 Depth=1
	v_or_b32_e32 v0, 0x10000, v76
	v_cmp_eq_u32_sdwa s[8:9], v76, v59 src0_sel:WORD_0 src1_sel:DWORD
	v_cndmask_b32_e64 v0, v0, v76, s[8:9]
; %bb.68:                               ;   in Loop: Header=BB30_16 Depth=1
	s_or_b64 exec, exec, s[12:13]
	buffer_load_dword v38, off, s[44:47], 0 offset:176 ; 4-byte Folded Reload
	buffer_load_dword v39, off, s[44:47], 0 offset:180 ; 4-byte Folded Reload
	s_waitcnt lgkmcnt(0)
	v_mov_b32_e32 v1, s25
	s_waitcnt vmcnt(1)
	v_add_u32_e32 v58, 2, v38
	s_waitcnt vmcnt(0)
	v_lshlrev_b64 v[38:39], 1, v[58:59]
	v_add_co_u32_e64 v38, s[8:9], s24, v38
	v_addc_co_u32_e64 v39, s[8:9], v1, v39, s[8:9]
	global_store_short_d16_hi v[38:39], v0, off
	s_or_b64 exec, exec, s[10:11]
	v_cmp_ne_u32_e64 s[8:9], 0, v5
	s_and_saveexec_b64 s[12:13], s[8:9]
	s_cbranch_execz .LBB30_51
.LBB30_69:                              ;   in Loop: Header=BB30_16 Depth=1
	v_and_b32_e32 v0, 0x7f800000, v75
	v_cmp_ne_u32_e64 s[10:11], s43, v0
                                        ; implicit-def: $vgpr0
	s_and_saveexec_b64 s[14:15], s[10:11]
	s_xor_b64 s[10:11], exec, s[14:15]
; %bb.70:                               ;   in Loop: Header=BB30_16 Depth=1
	v_pk_mov_b32 v[0:1], v[74:75], v[74:75] op_sel:[0,1]
	v_bfe_u32 v0, v1, 16, 1
	v_add3_u32 v0, v1, v0, s42
; %bb.71:                               ;   in Loop: Header=BB30_16 Depth=1
	s_andn2_saveexec_b64 s[14:15], s[10:11]
; %bb.72:                               ;   in Loop: Header=BB30_16 Depth=1
	v_pk_mov_b32 v[0:1], v[74:75], v[74:75] op_sel:[0,1]
	v_or_b32_e32 v0, 0x10000, v1
	v_cmp_eq_u32_sdwa s[10:11], v1, v59 src0_sel:WORD_0 src1_sel:DWORD
	v_cndmask_b32_e64 v0, v0, v1, s[10:11]
; %bb.73:                               ;   in Loop: Header=BB30_16 Depth=1
	s_or_b64 exec, exec, s[14:15]
	buffer_load_dword v38, off, s[44:47], 0 offset:176 ; 4-byte Folded Reload
	buffer_load_dword v39, off, s[44:47], 0 offset:180 ; 4-byte Folded Reload
	s_waitcnt lgkmcnt(0)
	v_mov_b32_e32 v1, s25
	s_waitcnt vmcnt(1)
	v_add_u32_e32 v58, 3, v38
	s_waitcnt vmcnt(0)
	v_lshlrev_b64 v[38:39], 1, v[58:59]
	v_add_co_u32_e64 v38, s[10:11], s24, v38
	v_addc_co_u32_e64 v39, s[10:11], v1, v39, s[10:11]
	global_store_short_d16_hi v[38:39], v0, off
	s_or_b64 exec, exec, s[12:13]
	v_cmp_ne_u32_e64 s[10:11], 0, v6
	s_and_saveexec_b64 s[14:15], s[10:11]
	s_cbranch_execz .LBB30_52
.LBB30_74:                              ;   in Loop: Header=BB30_16 Depth=1
	v_and_b32_e32 v0, 0x7f800000, v74
	v_cmp_ne_u32_e64 s[12:13], s43, v0
                                        ; implicit-def: $vgpr0
	s_and_saveexec_b64 s[16:17], s[12:13]
	s_xor_b64 s[12:13], exec, s[16:17]
; %bb.75:                               ;   in Loop: Header=BB30_16 Depth=1
	v_bfe_u32 v0, v74, 16, 1
	v_add3_u32 v0, v74, v0, s42
                                        ; implicit-def: $vgpr74
; %bb.76:                               ;   in Loop: Header=BB30_16 Depth=1
	s_andn2_saveexec_b64 s[16:17], s[12:13]
; %bb.77:                               ;   in Loop: Header=BB30_16 Depth=1
	v_or_b32_e32 v0, 0x10000, v74
	v_cmp_eq_u32_sdwa s[12:13], v74, v59 src0_sel:WORD_0 src1_sel:DWORD
	v_cndmask_b32_e64 v0, v0, v74, s[12:13]
; %bb.78:                               ;   in Loop: Header=BB30_16 Depth=1
	s_or_b64 exec, exec, s[16:17]
	buffer_load_dword v38, off, s[44:47], 0 offset:176 ; 4-byte Folded Reload
	buffer_load_dword v39, off, s[44:47], 0 offset:180 ; 4-byte Folded Reload
	s_waitcnt lgkmcnt(0)
	v_mov_b32_e32 v1, s25
	s_waitcnt vmcnt(1)
	v_add_u32_e32 v58, 4, v38
	s_waitcnt vmcnt(0)
	v_lshlrev_b64 v[38:39], 1, v[58:59]
	v_add_co_u32_e64 v38, s[12:13], s24, v38
	v_addc_co_u32_e64 v39, s[12:13], v1, v39, s[12:13]
	global_store_short_d16_hi v[38:39], v0, off
	s_or_b64 exec, exec, s[14:15]
	v_cmp_ne_u32_e64 s[12:13], 0, v7
	s_and_saveexec_b64 s[16:17], s[12:13]
	s_cbranch_execz .LBB30_53
.LBB30_79:                              ;   in Loop: Header=BB30_16 Depth=1
	v_and_b32_e32 v0, 0x7f800000, v73
	v_cmp_ne_u32_e64 s[14:15], s43, v0
                                        ; implicit-def: $vgpr0
	s_and_saveexec_b64 s[34:35], s[14:15]
	s_xor_b64 s[14:15], exec, s[34:35]
; %bb.80:                               ;   in Loop: Header=BB30_16 Depth=1
	v_pk_mov_b32 v[0:1], v[72:73], v[72:73] op_sel:[0,1]
	v_bfe_u32 v0, v1, 16, 1
	v_add3_u32 v0, v1, v0, s42
; %bb.81:                               ;   in Loop: Header=BB30_16 Depth=1
	s_andn2_saveexec_b64 s[34:35], s[14:15]
; %bb.82:                               ;   in Loop: Header=BB30_16 Depth=1
	v_pk_mov_b32 v[0:1], v[72:73], v[72:73] op_sel:[0,1]
	v_or_b32_e32 v0, 0x10000, v1
	v_cmp_eq_u32_sdwa s[14:15], v1, v59 src0_sel:WORD_0 src1_sel:DWORD
	v_cndmask_b32_e64 v0, v0, v1, s[14:15]
; %bb.83:                               ;   in Loop: Header=BB30_16 Depth=1
	s_or_b64 exec, exec, s[34:35]
	buffer_load_dword v38, off, s[44:47], 0 offset:176 ; 4-byte Folded Reload
	buffer_load_dword v39, off, s[44:47], 0 offset:180 ; 4-byte Folded Reload
	s_waitcnt lgkmcnt(0)
	v_mov_b32_e32 v1, s25
	s_waitcnt vmcnt(1)
	v_add_u32_e32 v58, 5, v38
	s_waitcnt vmcnt(0)
	v_lshlrev_b64 v[38:39], 1, v[58:59]
	v_add_co_u32_e64 v38, s[14:15], s24, v38
	v_addc_co_u32_e64 v39, s[14:15], v1, v39, s[14:15]
	global_store_short_d16_hi v[38:39], v0, off
	s_or_b64 exec, exec, s[16:17]
	v_cmp_ne_u32_e64 s[14:15], 0, v8
	s_and_saveexec_b64 s[34:35], s[14:15]
	s_cbranch_execz .LBB30_89
.LBB30_84:                              ;   in Loop: Header=BB30_16 Depth=1
	v_and_b32_e32 v0, 0x7f800000, v72
	v_cmp_ne_u32_e64 s[16:17], s43, v0
                                        ; implicit-def: $vgpr0
	s_and_saveexec_b64 s[36:37], s[16:17]
	s_xor_b64 s[16:17], exec, s[36:37]
; %bb.85:                               ;   in Loop: Header=BB30_16 Depth=1
	v_bfe_u32 v0, v72, 16, 1
	v_add3_u32 v0, v72, v0, s42
                                        ; implicit-def: $vgpr72
; %bb.86:                               ;   in Loop: Header=BB30_16 Depth=1
	s_andn2_saveexec_b64 s[36:37], s[16:17]
; %bb.87:                               ;   in Loop: Header=BB30_16 Depth=1
	v_or_b32_e32 v0, 0x10000, v72
	v_cmp_eq_u32_sdwa s[16:17], v72, v59 src0_sel:WORD_0 src1_sel:DWORD
	v_cndmask_b32_e64 v0, v0, v72, s[16:17]
; %bb.88:                               ;   in Loop: Header=BB30_16 Depth=1
	s_or_b64 exec, exec, s[36:37]
	buffer_load_dword v38, off, s[44:47], 0 offset:176 ; 4-byte Folded Reload
	buffer_load_dword v39, off, s[44:47], 0 offset:180 ; 4-byte Folded Reload
	s_waitcnt lgkmcnt(0)
	v_mov_b32_e32 v1, s25
	s_waitcnt vmcnt(1)
	v_add_u32_e32 v58, 6, v38
	s_waitcnt vmcnt(0)
	v_lshlrev_b64 v[38:39], 1, v[58:59]
	v_add_co_u32_e64 v38, s[16:17], s24, v38
	v_addc_co_u32_e64 v39, s[16:17], v1, v39, s[16:17]
	global_store_short_d16_hi v[38:39], v0, off
.LBB30_89:                              ;   in Loop: Header=BB30_16 Depth=1
	s_or_b64 exec, exec, s[34:35]
	buffer_load_dword v0, off, s[44:47], 0 offset:176 ; 4-byte Folded Reload
	buffer_load_dword v1, off, s[44:47], 0 offset:180 ; 4-byte Folded Reload
	s_waitcnt vmcnt(1)
	v_add_u32_e32 v58, s19, v0
	s_and_saveexec_b64 s[34:35], vcc
	s_cbranch_execnz .LBB30_110
; %bb.90:                               ;   in Loop: Header=BB30_16 Depth=1
	s_or_b64 exec, exec, s[34:35]
	s_and_saveexec_b64 s[34:35], s[4:5]
	s_cbranch_execnz .LBB30_115
.LBB30_91:                              ;   in Loop: Header=BB30_16 Depth=1
	s_or_b64 exec, exec, s[34:35]
	s_and_saveexec_b64 s[34:35], s[6:7]
	s_cbranch_execnz .LBB30_120
.LBB30_92:                              ;   in Loop: Header=BB30_16 Depth=1
	s_or_b64 exec, exec, s[34:35]
	s_and_saveexec_b64 s[34:35], s[8:9]
	s_cbranch_execnz .LBB30_125
.LBB30_93:                              ;   in Loop: Header=BB30_16 Depth=1
	s_or_b64 exec, exec, s[34:35]
	s_and_saveexec_b64 s[34:35], s[10:11]
	s_cbranch_execnz .LBB30_130
.LBB30_94:                              ;   in Loop: Header=BB30_16 Depth=1
	s_or_b64 exec, exec, s[34:35]
	s_and_saveexec_b64 s[34:35], s[12:13]
	s_cbranch_execnz .LBB30_135
.LBB30_95:                              ;   in Loop: Header=BB30_16 Depth=1
	s_or_b64 exec, exec, s[34:35]
	s_and_saveexec_b64 s[34:35], s[14:15]
	s_cbranch_execnz .LBB30_140
.LBB30_96:                              ;   in Loop: Header=BB30_16 Depth=1
	s_or_b64 exec, exec, s[34:35]
	v_add_u32_e32 v58, s19, v58
	s_and_saveexec_b64 s[34:35], vcc
	s_cbranch_execnz .LBB30_145
.LBB30_97:                              ;   in Loop: Header=BB30_16 Depth=1
	s_or_b64 exec, exec, s[34:35]
	s_and_saveexec_b64 s[34:35], s[4:5]
	s_cbranch_execnz .LBB30_150
.LBB30_98:                              ;   in Loop: Header=BB30_16 Depth=1
	s_or_b64 exec, exec, s[34:35]
	s_and_saveexec_b64 s[34:35], s[6:7]
	s_cbranch_execnz .LBB30_155
.LBB30_99:                              ;   in Loop: Header=BB30_16 Depth=1
	s_or_b64 exec, exec, s[34:35]
	s_and_saveexec_b64 s[34:35], s[8:9]
	s_cbranch_execnz .LBB30_160
.LBB30_100:                             ;   in Loop: Header=BB30_16 Depth=1
	s_or_b64 exec, exec, s[34:35]
	s_and_saveexec_b64 s[34:35], s[10:11]
	s_cbranch_execnz .LBB30_165
.LBB30_101:                             ;   in Loop: Header=BB30_16 Depth=1
	s_or_b64 exec, exec, s[34:35]
	s_and_saveexec_b64 s[34:35], s[12:13]
	s_cbranch_execnz .LBB30_170
.LBB30_102:                             ;   in Loop: Header=BB30_16 Depth=1
	s_or_b64 exec, exec, s[34:35]
	s_and_saveexec_b64 s[34:35], s[14:15]
	s_cbranch_execnz .LBB30_175
.LBB30_103:                             ;   in Loop: Header=BB30_16 Depth=1
	s_or_b64 exec, exec, s[34:35]
	v_add_u32_e32 v58, s19, v58
	s_and_saveexec_b64 s[16:17], vcc
	s_cbranch_execnz .LBB30_180
.LBB30_104:                             ;   in Loop: Header=BB30_16 Depth=1
	s_or_b64 exec, exec, s[16:17]
	s_and_saveexec_b64 s[16:17], s[4:5]
	s_cbranch_execnz .LBB30_185
.LBB30_105:                             ;   in Loop: Header=BB30_16 Depth=1
	s_or_b64 exec, exec, s[16:17]
	s_and_saveexec_b64 s[4:5], s[6:7]
	s_cbranch_execnz .LBB30_190
.LBB30_106:                             ;   in Loop: Header=BB30_16 Depth=1
	s_or_b64 exec, exec, s[4:5]
	s_and_saveexec_b64 s[4:5], s[8:9]
	s_cbranch_execnz .LBB30_195
.LBB30_107:                             ;   in Loop: Header=BB30_16 Depth=1
	s_or_b64 exec, exec, s[4:5]
	s_and_saveexec_b64 s[4:5], s[10:11]
	s_cbranch_execnz .LBB30_200
.LBB30_108:                             ;   in Loop: Header=BB30_16 Depth=1
	s_or_b64 exec, exec, s[4:5]
	s_and_saveexec_b64 s[4:5], s[12:13]
	s_cbranch_execnz .LBB30_205
.LBB30_109:                             ;   in Loop: Header=BB30_16 Depth=1
	s_or_b64 exec, exec, s[4:5]
	s_and_b64 exec, exec, s[14:15]
	s_cbranch_execnz .LBB30_210
	s_branch .LBB30_215
.LBB30_110:                             ;   in Loop: Header=BB30_16 Depth=1
	v_and_b32_e32 v0, 0x7f800000, v70
	v_cmp_ne_u32_e64 s[16:17], s43, v0
                                        ; implicit-def: $vgpr0
	s_and_saveexec_b64 s[36:37], s[16:17]
	s_xor_b64 s[16:17], exec, s[36:37]
; %bb.111:                              ;   in Loop: Header=BB30_16 Depth=1
	v_bfe_u32 v0, v70, 16, 1
	v_add3_u32 v0, v70, v0, s42
                                        ; implicit-def: $vgpr70
; %bb.112:                              ;   in Loop: Header=BB30_16 Depth=1
	s_andn2_saveexec_b64 s[36:37], s[16:17]
; %bb.113:                              ;   in Loop: Header=BB30_16 Depth=1
	v_or_b32_e32 v0, 0x10000, v70
	v_cmp_eq_u32_sdwa s[16:17], v70, v59 src0_sel:WORD_0 src1_sel:DWORD
	v_cndmask_b32_e64 v0, v0, v70, s[16:17]
; %bb.114:                              ;   in Loop: Header=BB30_16 Depth=1
	s_or_b64 exec, exec, s[36:37]
	v_lshlrev_b64 v[38:39], 1, v[58:59]
	s_waitcnt vmcnt(0) lgkmcnt(0)
	v_mov_b32_e32 v1, s25
	v_add_co_u32_e64 v38, s[16:17], s24, v38
	v_addc_co_u32_e64 v39, s[16:17], v1, v39, s[16:17]
	global_store_short_d16_hi v[38:39], v0, off
	s_or_b64 exec, exec, s[34:35]
	s_and_saveexec_b64 s[34:35], s[4:5]
	s_cbranch_execz .LBB30_91
.LBB30_115:                             ;   in Loop: Header=BB30_16 Depth=1
	v_and_b32_e32 v0, 0x7f800000, v69
	v_cmp_ne_u32_e64 s[16:17], s43, v0
                                        ; implicit-def: $vgpr0
	s_and_saveexec_b64 s[36:37], s[16:17]
	s_xor_b64 s[16:17], exec, s[36:37]
	s_cbranch_execz .LBB30_117
; %bb.116:                              ;   in Loop: Header=BB30_16 Depth=1
	s_waitcnt vmcnt(0)
	v_pk_mov_b32 v[0:1], v[68:69], v[68:69] op_sel:[0,1]
	v_bfe_u32 v0, v1, 16, 1
	v_add3_u32 v0, v1, v0, s42
.LBB30_117:                             ;   in Loop: Header=BB30_16 Depth=1
	s_andn2_saveexec_b64 s[36:37], s[16:17]
	s_cbranch_execz .LBB30_119
; %bb.118:                              ;   in Loop: Header=BB30_16 Depth=1
	s_waitcnt vmcnt(0)
	v_pk_mov_b32 v[0:1], v[68:69], v[68:69] op_sel:[0,1]
	v_or_b32_e32 v0, 0x10000, v1
	v_cmp_eq_u32_sdwa s[16:17], v1, v59 src0_sel:WORD_0 src1_sel:DWORD
	v_cndmask_b32_e64 v0, v0, v1, s[16:17]
.LBB30_119:                             ;   in Loop: Header=BB30_16 Depth=1
	s_or_b64 exec, exec, s[36:37]
	v_add_u32_e32 v38, 1, v58
	v_mov_b32_e32 v39, v59
	v_lshlrev_b64 v[38:39], 1, v[38:39]
	s_waitcnt vmcnt(0) lgkmcnt(0)
	v_mov_b32_e32 v1, s25
	v_add_co_u32_e64 v38, s[16:17], s24, v38
	v_addc_co_u32_e64 v39, s[16:17], v1, v39, s[16:17]
	global_store_short_d16_hi v[38:39], v0, off
	s_or_b64 exec, exec, s[34:35]
	s_and_saveexec_b64 s[34:35], s[6:7]
	s_cbranch_execz .LBB30_92
.LBB30_120:                             ;   in Loop: Header=BB30_16 Depth=1
	v_and_b32_e32 v0, 0x7f800000, v68
	v_cmp_ne_u32_e64 s[16:17], s43, v0
                                        ; implicit-def: $vgpr0
	s_and_saveexec_b64 s[36:37], s[16:17]
	s_xor_b64 s[16:17], exec, s[36:37]
; %bb.121:                              ;   in Loop: Header=BB30_16 Depth=1
	v_bfe_u32 v0, v68, 16, 1
	v_add3_u32 v0, v68, v0, s42
                                        ; implicit-def: $vgpr68
; %bb.122:                              ;   in Loop: Header=BB30_16 Depth=1
	s_andn2_saveexec_b64 s[36:37], s[16:17]
; %bb.123:                              ;   in Loop: Header=BB30_16 Depth=1
	v_or_b32_e32 v0, 0x10000, v68
	v_cmp_eq_u32_sdwa s[16:17], v68, v59 src0_sel:WORD_0 src1_sel:DWORD
	v_cndmask_b32_e64 v0, v0, v68, s[16:17]
; %bb.124:                              ;   in Loop: Header=BB30_16 Depth=1
	s_or_b64 exec, exec, s[36:37]
	v_add_u32_e32 v38, 2, v58
	v_mov_b32_e32 v39, v59
	v_lshlrev_b64 v[38:39], 1, v[38:39]
	s_waitcnt vmcnt(0) lgkmcnt(0)
	v_mov_b32_e32 v1, s25
	v_add_co_u32_e64 v38, s[16:17], s24, v38
	v_addc_co_u32_e64 v39, s[16:17], v1, v39, s[16:17]
	global_store_short_d16_hi v[38:39], v0, off
	s_or_b64 exec, exec, s[34:35]
	s_and_saveexec_b64 s[34:35], s[8:9]
	s_cbranch_execz .LBB30_93
.LBB30_125:                             ;   in Loop: Header=BB30_16 Depth=1
	v_and_b32_e32 v0, 0x7f800000, v67
	v_cmp_ne_u32_e64 s[16:17], s43, v0
                                        ; implicit-def: $vgpr0
	s_and_saveexec_b64 s[36:37], s[16:17]
	s_xor_b64 s[16:17], exec, s[36:37]
	s_cbranch_execz .LBB30_127
; %bb.126:                              ;   in Loop: Header=BB30_16 Depth=1
	s_waitcnt vmcnt(0)
	v_pk_mov_b32 v[0:1], v[66:67], v[66:67] op_sel:[0,1]
	v_bfe_u32 v0, v1, 16, 1
	v_add3_u32 v0, v1, v0, s42
.LBB30_127:                             ;   in Loop: Header=BB30_16 Depth=1
	s_andn2_saveexec_b64 s[36:37], s[16:17]
	s_cbranch_execz .LBB30_129
; %bb.128:                              ;   in Loop: Header=BB30_16 Depth=1
	s_waitcnt vmcnt(0)
	v_pk_mov_b32 v[0:1], v[66:67], v[66:67] op_sel:[0,1]
	v_or_b32_e32 v0, 0x10000, v1
	v_cmp_eq_u32_sdwa s[16:17], v1, v59 src0_sel:WORD_0 src1_sel:DWORD
	v_cndmask_b32_e64 v0, v0, v1, s[16:17]
.LBB30_129:                             ;   in Loop: Header=BB30_16 Depth=1
	s_or_b64 exec, exec, s[36:37]
	v_add_u32_e32 v38, 3, v58
	v_mov_b32_e32 v39, v59
	v_lshlrev_b64 v[38:39], 1, v[38:39]
	s_waitcnt vmcnt(0) lgkmcnt(0)
	v_mov_b32_e32 v1, s25
	v_add_co_u32_e64 v38, s[16:17], s24, v38
	v_addc_co_u32_e64 v39, s[16:17], v1, v39, s[16:17]
	global_store_short_d16_hi v[38:39], v0, off
	s_or_b64 exec, exec, s[34:35]
	s_and_saveexec_b64 s[34:35], s[10:11]
	s_cbranch_execz .LBB30_94
.LBB30_130:                             ;   in Loop: Header=BB30_16 Depth=1
	v_and_b32_e32 v0, 0x7f800000, v66
	v_cmp_ne_u32_e64 s[16:17], s43, v0
                                        ; implicit-def: $vgpr0
	s_and_saveexec_b64 s[36:37], s[16:17]
	s_xor_b64 s[16:17], exec, s[36:37]
; %bb.131:                              ;   in Loop: Header=BB30_16 Depth=1
	v_bfe_u32 v0, v66, 16, 1
	v_add3_u32 v0, v66, v0, s42
                                        ; implicit-def: $vgpr66
; %bb.132:                              ;   in Loop: Header=BB30_16 Depth=1
	s_andn2_saveexec_b64 s[36:37], s[16:17]
; %bb.133:                              ;   in Loop: Header=BB30_16 Depth=1
	v_or_b32_e32 v0, 0x10000, v66
	v_cmp_eq_u32_sdwa s[16:17], v66, v59 src0_sel:WORD_0 src1_sel:DWORD
	v_cndmask_b32_e64 v0, v0, v66, s[16:17]
; %bb.134:                              ;   in Loop: Header=BB30_16 Depth=1
	s_or_b64 exec, exec, s[36:37]
	v_add_u32_e32 v38, 4, v58
	v_mov_b32_e32 v39, v59
	v_lshlrev_b64 v[38:39], 1, v[38:39]
	s_waitcnt vmcnt(0) lgkmcnt(0)
	v_mov_b32_e32 v1, s25
	v_add_co_u32_e64 v38, s[16:17], s24, v38
	v_addc_co_u32_e64 v39, s[16:17], v1, v39, s[16:17]
	global_store_short_d16_hi v[38:39], v0, off
	s_or_b64 exec, exec, s[34:35]
	s_and_saveexec_b64 s[34:35], s[12:13]
	s_cbranch_execz .LBB30_95
.LBB30_135:                             ;   in Loop: Header=BB30_16 Depth=1
	v_and_b32_e32 v0, 0x7f800000, v65
	v_cmp_ne_u32_e64 s[16:17], s43, v0
                                        ; implicit-def: $vgpr0
	s_and_saveexec_b64 s[36:37], s[16:17]
	s_xor_b64 s[16:17], exec, s[36:37]
	s_cbranch_execz .LBB30_137
; %bb.136:                              ;   in Loop: Header=BB30_16 Depth=1
	s_waitcnt vmcnt(0)
	v_pk_mov_b32 v[0:1], v[64:65], v[64:65] op_sel:[0,1]
	v_bfe_u32 v0, v1, 16, 1
	v_add3_u32 v0, v1, v0, s42
.LBB30_137:                             ;   in Loop: Header=BB30_16 Depth=1
	s_andn2_saveexec_b64 s[36:37], s[16:17]
	s_cbranch_execz .LBB30_139
; %bb.138:                              ;   in Loop: Header=BB30_16 Depth=1
	s_waitcnt vmcnt(0)
	v_pk_mov_b32 v[0:1], v[64:65], v[64:65] op_sel:[0,1]
	v_or_b32_e32 v0, 0x10000, v1
	v_cmp_eq_u32_sdwa s[16:17], v1, v59 src0_sel:WORD_0 src1_sel:DWORD
	v_cndmask_b32_e64 v0, v0, v1, s[16:17]
.LBB30_139:                             ;   in Loop: Header=BB30_16 Depth=1
	s_or_b64 exec, exec, s[36:37]
	v_add_u32_e32 v38, 5, v58
	v_mov_b32_e32 v39, v59
	v_lshlrev_b64 v[38:39], 1, v[38:39]
	s_waitcnt vmcnt(0) lgkmcnt(0)
	v_mov_b32_e32 v1, s25
	v_add_co_u32_e64 v38, s[16:17], s24, v38
	v_addc_co_u32_e64 v39, s[16:17], v1, v39, s[16:17]
	global_store_short_d16_hi v[38:39], v0, off
	s_or_b64 exec, exec, s[34:35]
	s_and_saveexec_b64 s[34:35], s[14:15]
	s_cbranch_execz .LBB30_96
.LBB30_140:                             ;   in Loop: Header=BB30_16 Depth=1
	v_and_b32_e32 v0, 0x7f800000, v64
	v_cmp_ne_u32_e64 s[16:17], s43, v0
                                        ; implicit-def: $vgpr0
	s_and_saveexec_b64 s[36:37], s[16:17]
	s_xor_b64 s[16:17], exec, s[36:37]
; %bb.141:                              ;   in Loop: Header=BB30_16 Depth=1
	v_bfe_u32 v0, v64, 16, 1
	v_add3_u32 v0, v64, v0, s42
                                        ; implicit-def: $vgpr64
; %bb.142:                              ;   in Loop: Header=BB30_16 Depth=1
	s_andn2_saveexec_b64 s[36:37], s[16:17]
; %bb.143:                              ;   in Loop: Header=BB30_16 Depth=1
	v_or_b32_e32 v0, 0x10000, v64
	v_cmp_eq_u32_sdwa s[16:17], v64, v59 src0_sel:WORD_0 src1_sel:DWORD
	v_cndmask_b32_e64 v0, v0, v64, s[16:17]
; %bb.144:                              ;   in Loop: Header=BB30_16 Depth=1
	s_or_b64 exec, exec, s[36:37]
	v_add_u32_e32 v38, 6, v58
	v_mov_b32_e32 v39, v59
	v_lshlrev_b64 v[38:39], 1, v[38:39]
	s_waitcnt vmcnt(0) lgkmcnt(0)
	v_mov_b32_e32 v1, s25
	v_add_co_u32_e64 v38, s[16:17], s24, v38
	v_addc_co_u32_e64 v39, s[16:17], v1, v39, s[16:17]
	global_store_short_d16_hi v[38:39], v0, off
	s_or_b64 exec, exec, s[34:35]
	v_add_u32_e32 v58, s19, v58
	s_and_saveexec_b64 s[34:35], vcc
	s_cbranch_execz .LBB30_97
.LBB30_145:                             ;   in Loop: Header=BB30_16 Depth=1
	v_and_b32_e32 v0, 0x7f800000, v41
	v_cmp_ne_u32_e64 s[16:17], s43, v0
                                        ; implicit-def: $vgpr0
	s_and_saveexec_b64 s[36:37], s[16:17]
	s_xor_b64 s[16:17], exec, s[36:37]
; %bb.146:                              ;   in Loop: Header=BB30_16 Depth=1
	v_bfe_u32 v0, v41, 16, 1
	v_add3_u32 v0, v41, v0, s42
                                        ; implicit-def: $vgpr41
; %bb.147:                              ;   in Loop: Header=BB30_16 Depth=1
	s_andn2_saveexec_b64 s[36:37], s[16:17]
; %bb.148:                              ;   in Loop: Header=BB30_16 Depth=1
	v_or_b32_e32 v0, 0x10000, v41
	v_cmp_eq_u32_sdwa s[16:17], v41, v59 src0_sel:WORD_0 src1_sel:DWORD
	v_cndmask_b32_e64 v0, v0, v41, s[16:17]
; %bb.149:                              ;   in Loop: Header=BB30_16 Depth=1
	s_or_b64 exec, exec, s[36:37]
	v_lshlrev_b64 v[38:39], 1, v[58:59]
	s_waitcnt vmcnt(0) lgkmcnt(0)
	v_mov_b32_e32 v1, s25
	v_add_co_u32_e64 v38, s[16:17], s24, v38
	v_addc_co_u32_e64 v39, s[16:17], v1, v39, s[16:17]
	global_store_short_d16_hi v[38:39], v0, off
	s_or_b64 exec, exec, s[34:35]
	s_and_saveexec_b64 s[34:35], s[4:5]
	s_cbranch_execz .LBB30_98
.LBB30_150:                             ;   in Loop: Header=BB30_16 Depth=1
	v_and_b32_e32 v0, 0x7f800000, v63
	v_cmp_ne_u32_e64 s[16:17], s43, v0
                                        ; implicit-def: $vgpr0
	s_and_saveexec_b64 s[36:37], s[16:17]
	s_xor_b64 s[16:17], exec, s[36:37]
	s_cbranch_execz .LBB30_152
; %bb.151:                              ;   in Loop: Header=BB30_16 Depth=1
	s_waitcnt vmcnt(0)
	v_pk_mov_b32 v[0:1], v[62:63], v[62:63] op_sel:[0,1]
	v_bfe_u32 v0, v1, 16, 1
	v_add3_u32 v0, v1, v0, s42
.LBB30_152:                             ;   in Loop: Header=BB30_16 Depth=1
	s_andn2_saveexec_b64 s[36:37], s[16:17]
	s_cbranch_execz .LBB30_154
; %bb.153:                              ;   in Loop: Header=BB30_16 Depth=1
	s_waitcnt vmcnt(0)
	v_pk_mov_b32 v[0:1], v[62:63], v[62:63] op_sel:[0,1]
	v_or_b32_e32 v0, 0x10000, v1
	v_cmp_eq_u32_sdwa s[16:17], v1, v59 src0_sel:WORD_0 src1_sel:DWORD
	v_cndmask_b32_e64 v0, v0, v1, s[16:17]
.LBB30_154:                             ;   in Loop: Header=BB30_16 Depth=1
	s_or_b64 exec, exec, s[36:37]
	v_add_u32_e32 v38, 1, v58
	v_mov_b32_e32 v39, v59
	v_lshlrev_b64 v[38:39], 1, v[38:39]
	s_waitcnt vmcnt(0) lgkmcnt(0)
	v_mov_b32_e32 v1, s25
	v_add_co_u32_e64 v38, s[16:17], s24, v38
	v_addc_co_u32_e64 v39, s[16:17], v1, v39, s[16:17]
	global_store_short_d16_hi v[38:39], v0, off
	s_or_b64 exec, exec, s[34:35]
	s_and_saveexec_b64 s[34:35], s[6:7]
	s_cbranch_execz .LBB30_99
.LBB30_155:                             ;   in Loop: Header=BB30_16 Depth=1
	v_and_b32_e32 v0, 0x7f800000, v62
	v_cmp_ne_u32_e64 s[16:17], s43, v0
                                        ; implicit-def: $vgpr0
	s_and_saveexec_b64 s[36:37], s[16:17]
	s_xor_b64 s[16:17], exec, s[36:37]
; %bb.156:                              ;   in Loop: Header=BB30_16 Depth=1
	v_bfe_u32 v0, v62, 16, 1
	v_add3_u32 v0, v62, v0, s42
                                        ; implicit-def: $vgpr62
; %bb.157:                              ;   in Loop: Header=BB30_16 Depth=1
	s_andn2_saveexec_b64 s[36:37], s[16:17]
; %bb.158:                              ;   in Loop: Header=BB30_16 Depth=1
	v_or_b32_e32 v0, 0x10000, v62
	v_cmp_eq_u32_sdwa s[16:17], v62, v59 src0_sel:WORD_0 src1_sel:DWORD
	v_cndmask_b32_e64 v0, v0, v62, s[16:17]
; %bb.159:                              ;   in Loop: Header=BB30_16 Depth=1
	s_or_b64 exec, exec, s[36:37]
	v_add_u32_e32 v38, 2, v58
	v_mov_b32_e32 v39, v59
	v_lshlrev_b64 v[38:39], 1, v[38:39]
	s_waitcnt vmcnt(0) lgkmcnt(0)
	v_mov_b32_e32 v1, s25
	v_add_co_u32_e64 v38, s[16:17], s24, v38
	v_addc_co_u32_e64 v39, s[16:17], v1, v39, s[16:17]
	global_store_short_d16_hi v[38:39], v0, off
	s_or_b64 exec, exec, s[34:35]
	s_and_saveexec_b64 s[34:35], s[8:9]
	s_cbranch_execz .LBB30_100
.LBB30_160:                             ;   in Loop: Header=BB30_16 Depth=1
	v_and_b32_e32 v0, 0x7f800000, v61
	v_cmp_ne_u32_e64 s[16:17], s43, v0
                                        ; implicit-def: $vgpr0
	s_and_saveexec_b64 s[36:37], s[16:17]
	s_xor_b64 s[16:17], exec, s[36:37]
	s_cbranch_execz .LBB30_162
; %bb.161:                              ;   in Loop: Header=BB30_16 Depth=1
	s_waitcnt vmcnt(0)
	v_pk_mov_b32 v[0:1], v[60:61], v[60:61] op_sel:[0,1]
	v_bfe_u32 v0, v1, 16, 1
	v_add3_u32 v0, v1, v0, s42
.LBB30_162:                             ;   in Loop: Header=BB30_16 Depth=1
	s_andn2_saveexec_b64 s[36:37], s[16:17]
	s_cbranch_execz .LBB30_164
; %bb.163:                              ;   in Loop: Header=BB30_16 Depth=1
	s_waitcnt vmcnt(0)
	v_pk_mov_b32 v[0:1], v[60:61], v[60:61] op_sel:[0,1]
	v_or_b32_e32 v0, 0x10000, v1
	v_cmp_eq_u32_sdwa s[16:17], v1, v59 src0_sel:WORD_0 src1_sel:DWORD
	v_cndmask_b32_e64 v0, v0, v1, s[16:17]
.LBB30_164:                             ;   in Loop: Header=BB30_16 Depth=1
	s_or_b64 exec, exec, s[36:37]
	v_add_u32_e32 v38, 3, v58
	v_mov_b32_e32 v39, v59
	v_lshlrev_b64 v[38:39], 1, v[38:39]
	s_waitcnt vmcnt(0) lgkmcnt(0)
	v_mov_b32_e32 v1, s25
	v_add_co_u32_e64 v38, s[16:17], s24, v38
	v_addc_co_u32_e64 v39, s[16:17], v1, v39, s[16:17]
	global_store_short_d16_hi v[38:39], v0, off
	s_or_b64 exec, exec, s[34:35]
	s_and_saveexec_b64 s[34:35], s[10:11]
	s_cbranch_execz .LBB30_101
.LBB30_165:                             ;   in Loop: Header=BB30_16 Depth=1
	v_and_b32_e32 v0, 0x7f800000, v60
	v_cmp_ne_u32_e64 s[16:17], s43, v0
                                        ; implicit-def: $vgpr0
	s_and_saveexec_b64 s[36:37], s[16:17]
	s_xor_b64 s[16:17], exec, s[36:37]
; %bb.166:                              ;   in Loop: Header=BB30_16 Depth=1
	v_bfe_u32 v0, v60, 16, 1
	v_add3_u32 v0, v60, v0, s42
                                        ; implicit-def: $vgpr60
; %bb.167:                              ;   in Loop: Header=BB30_16 Depth=1
	s_andn2_saveexec_b64 s[36:37], s[16:17]
; %bb.168:                              ;   in Loop: Header=BB30_16 Depth=1
	v_or_b32_e32 v0, 0x10000, v60
	v_cmp_eq_u32_sdwa s[16:17], v60, v59 src0_sel:WORD_0 src1_sel:DWORD
	v_cndmask_b32_e64 v0, v0, v60, s[16:17]
; %bb.169:                              ;   in Loop: Header=BB30_16 Depth=1
	s_or_b64 exec, exec, s[36:37]
	v_add_u32_e32 v38, 4, v58
	v_mov_b32_e32 v39, v59
	v_lshlrev_b64 v[38:39], 1, v[38:39]
	s_waitcnt vmcnt(0) lgkmcnt(0)
	v_mov_b32_e32 v1, s25
	v_add_co_u32_e64 v38, s[16:17], s24, v38
	v_addc_co_u32_e64 v39, s[16:17], v1, v39, s[16:17]
	global_store_short_d16_hi v[38:39], v0, off
	s_or_b64 exec, exec, s[34:35]
	s_and_saveexec_b64 s[34:35], s[12:13]
	s_cbranch_execz .LBB30_102
.LBB30_170:                             ;   in Loop: Header=BB30_16 Depth=1
	v_and_b32_e32 v0, 0x7f800000, v57
	v_cmp_ne_u32_e64 s[16:17], s43, v0
                                        ; implicit-def: $vgpr0
	s_and_saveexec_b64 s[36:37], s[16:17]
	s_xor_b64 s[16:17], exec, s[36:37]
	s_cbranch_execz .LBB30_172
; %bb.171:                              ;   in Loop: Header=BB30_16 Depth=1
	s_waitcnt vmcnt(0)
	v_pk_mov_b32 v[0:1], v[56:57], v[56:57] op_sel:[0,1]
	v_bfe_u32 v0, v1, 16, 1
	v_add3_u32 v0, v1, v0, s42
.LBB30_172:                             ;   in Loop: Header=BB30_16 Depth=1
	s_andn2_saveexec_b64 s[36:37], s[16:17]
	s_cbranch_execz .LBB30_174
; %bb.173:                              ;   in Loop: Header=BB30_16 Depth=1
	s_waitcnt vmcnt(0)
	v_pk_mov_b32 v[0:1], v[56:57], v[56:57] op_sel:[0,1]
	v_or_b32_e32 v0, 0x10000, v1
	v_cmp_eq_u32_sdwa s[16:17], v1, v59 src0_sel:WORD_0 src1_sel:DWORD
	v_cndmask_b32_e64 v0, v0, v1, s[16:17]
.LBB30_174:                             ;   in Loop: Header=BB30_16 Depth=1
	s_or_b64 exec, exec, s[36:37]
	v_add_u32_e32 v38, 5, v58
	v_mov_b32_e32 v39, v59
	v_lshlrev_b64 v[38:39], 1, v[38:39]
	s_waitcnt vmcnt(0) lgkmcnt(0)
	v_mov_b32_e32 v1, s25
	v_add_co_u32_e64 v38, s[16:17], s24, v38
	v_addc_co_u32_e64 v39, s[16:17], v1, v39, s[16:17]
	global_store_short_d16_hi v[38:39], v0, off
	s_or_b64 exec, exec, s[34:35]
	s_and_saveexec_b64 s[34:35], s[14:15]
	s_cbranch_execz .LBB30_103
.LBB30_175:                             ;   in Loop: Header=BB30_16 Depth=1
	v_and_b32_e32 v0, 0x7f800000, v56
	v_cmp_ne_u32_e64 s[16:17], s43, v0
                                        ; implicit-def: $vgpr0
	s_and_saveexec_b64 s[36:37], s[16:17]
	s_xor_b64 s[16:17], exec, s[36:37]
; %bb.176:                              ;   in Loop: Header=BB30_16 Depth=1
	v_bfe_u32 v0, v56, 16, 1
	v_add3_u32 v0, v56, v0, s42
                                        ; implicit-def: $vgpr56
; %bb.177:                              ;   in Loop: Header=BB30_16 Depth=1
	s_andn2_saveexec_b64 s[36:37], s[16:17]
; %bb.178:                              ;   in Loop: Header=BB30_16 Depth=1
	v_or_b32_e32 v0, 0x10000, v56
	v_cmp_eq_u32_sdwa s[16:17], v56, v59 src0_sel:WORD_0 src1_sel:DWORD
	v_cndmask_b32_e64 v0, v0, v56, s[16:17]
; %bb.179:                              ;   in Loop: Header=BB30_16 Depth=1
	s_or_b64 exec, exec, s[36:37]
	v_add_u32_e32 v38, 6, v58
	v_mov_b32_e32 v39, v59
	v_lshlrev_b64 v[38:39], 1, v[38:39]
	s_waitcnt vmcnt(0) lgkmcnt(0)
	v_mov_b32_e32 v1, s25
	v_add_co_u32_e64 v38, s[16:17], s24, v38
	v_addc_co_u32_e64 v39, s[16:17], v1, v39, s[16:17]
	global_store_short_d16_hi v[38:39], v0, off
	s_or_b64 exec, exec, s[34:35]
	v_add_u32_e32 v58, s19, v58
	s_and_saveexec_b64 s[16:17], vcc
	s_cbranch_execz .LBB30_104
.LBB30_180:                             ;   in Loop: Header=BB30_16 Depth=1
	v_and_b32_e32 v0, 0x7f800000, v9
	v_cmp_ne_u32_e32 vcc, s43, v0
                                        ; implicit-def: $vgpr0
	s_and_saveexec_b64 s[34:35], vcc
	s_xor_b64 s[34:35], exec, s[34:35]
; %bb.181:                              ;   in Loop: Header=BB30_16 Depth=1
	v_bfe_u32 v0, v9, 16, 1
	v_add3_u32 v0, v9, v0, s42
                                        ; implicit-def: $vgpr9
; %bb.182:                              ;   in Loop: Header=BB30_16 Depth=1
	s_andn2_saveexec_b64 s[34:35], s[34:35]
; %bb.183:                              ;   in Loop: Header=BB30_16 Depth=1
	v_or_b32_e32 v0, 0x10000, v9
	v_cmp_eq_u32_sdwa vcc, v9, v59 src0_sel:WORD_0 src1_sel:DWORD
	v_cndmask_b32_e32 v0, v0, v9, vcc
; %bb.184:                              ;   in Loop: Header=BB30_16 Depth=1
	s_or_b64 exec, exec, s[34:35]
	v_lshlrev_b64 v[38:39], 1, v[58:59]
	s_waitcnt vmcnt(0) lgkmcnt(0)
	v_mov_b32_e32 v1, s25
	v_add_co_u32_e32 v38, vcc, s24, v38
	v_addc_co_u32_e32 v39, vcc, v1, v39, vcc
	global_store_short_d16_hi v[38:39], v0, off
	s_or_b64 exec, exec, s[16:17]
	s_and_saveexec_b64 s[16:17], s[4:5]
	s_cbranch_execz .LBB30_105
.LBB30_185:                             ;   in Loop: Header=BB30_16 Depth=1
	v_and_b32_e32 v0, 0x7f800000, v55
	v_cmp_ne_u32_e32 vcc, s43, v0
                                        ; implicit-def: $vgpr0
	s_and_saveexec_b64 s[4:5], vcc
	s_xor_b64 s[4:5], exec, s[4:5]
	s_cbranch_execz .LBB30_187
; %bb.186:                              ;   in Loop: Header=BB30_16 Depth=1
	s_waitcnt vmcnt(0)
	v_pk_mov_b32 v[0:1], v[54:55], v[54:55] op_sel:[0,1]
	v_bfe_u32 v0, v1, 16, 1
	v_add3_u32 v0, v1, v0, s42
.LBB30_187:                             ;   in Loop: Header=BB30_16 Depth=1
	s_andn2_saveexec_b64 s[4:5], s[4:5]
	s_cbranch_execz .LBB30_189
; %bb.188:                              ;   in Loop: Header=BB30_16 Depth=1
	s_waitcnt vmcnt(0)
	v_pk_mov_b32 v[0:1], v[54:55], v[54:55] op_sel:[0,1]
	v_or_b32_e32 v0, 0x10000, v1
	v_cmp_eq_u32_sdwa vcc, v1, v59 src0_sel:WORD_0 src1_sel:DWORD
	v_cndmask_b32_e32 v0, v0, v1, vcc
.LBB30_189:                             ;   in Loop: Header=BB30_16 Depth=1
	s_or_b64 exec, exec, s[4:5]
	v_add_u32_e32 v38, 1, v58
	v_mov_b32_e32 v39, v59
	v_lshlrev_b64 v[38:39], 1, v[38:39]
	s_waitcnt vmcnt(0) lgkmcnt(0)
	v_mov_b32_e32 v1, s25
	v_add_co_u32_e32 v38, vcc, s24, v38
	v_addc_co_u32_e32 v39, vcc, v1, v39, vcc
	global_store_short_d16_hi v[38:39], v0, off
	s_or_b64 exec, exec, s[16:17]
	s_and_saveexec_b64 s[4:5], s[6:7]
	s_cbranch_execz .LBB30_106
.LBB30_190:                             ;   in Loop: Header=BB30_16 Depth=1
	v_and_b32_e32 v0, 0x7f800000, v54
	v_cmp_ne_u32_e32 vcc, s43, v0
                                        ; implicit-def: $vgpr0
	s_and_saveexec_b64 s[6:7], vcc
	s_xor_b64 s[6:7], exec, s[6:7]
; %bb.191:                              ;   in Loop: Header=BB30_16 Depth=1
	v_bfe_u32 v0, v54, 16, 1
	v_add3_u32 v0, v54, v0, s42
                                        ; implicit-def: $vgpr54
; %bb.192:                              ;   in Loop: Header=BB30_16 Depth=1
	s_andn2_saveexec_b64 s[6:7], s[6:7]
; %bb.193:                              ;   in Loop: Header=BB30_16 Depth=1
	v_or_b32_e32 v0, 0x10000, v54
	v_cmp_eq_u32_sdwa vcc, v54, v59 src0_sel:WORD_0 src1_sel:DWORD
	v_cndmask_b32_e32 v0, v0, v54, vcc
; %bb.194:                              ;   in Loop: Header=BB30_16 Depth=1
	s_or_b64 exec, exec, s[6:7]
	v_add_u32_e32 v38, 2, v58
	v_mov_b32_e32 v39, v59
	v_lshlrev_b64 v[38:39], 1, v[38:39]
	s_waitcnt vmcnt(0) lgkmcnt(0)
	v_mov_b32_e32 v1, s25
	v_add_co_u32_e32 v38, vcc, s24, v38
	v_addc_co_u32_e32 v39, vcc, v1, v39, vcc
	global_store_short_d16_hi v[38:39], v0, off
	s_or_b64 exec, exec, s[4:5]
	s_and_saveexec_b64 s[4:5], s[8:9]
	s_cbranch_execz .LBB30_107
.LBB30_195:                             ;   in Loop: Header=BB30_16 Depth=1
	v_and_b32_e32 v0, 0x7f800000, v45
	v_cmp_ne_u32_e32 vcc, s43, v0
                                        ; implicit-def: $vgpr0
	s_and_saveexec_b64 s[6:7], vcc
	s_xor_b64 s[6:7], exec, s[6:7]
	s_cbranch_execz .LBB30_197
; %bb.196:                              ;   in Loop: Header=BB30_16 Depth=1
	s_waitcnt vmcnt(0)
	v_pk_mov_b32 v[0:1], v[44:45], v[44:45] op_sel:[0,1]
	v_bfe_u32 v0, v1, 16, 1
	v_add3_u32 v0, v1, v0, s42
.LBB30_197:                             ;   in Loop: Header=BB30_16 Depth=1
	s_andn2_saveexec_b64 s[6:7], s[6:7]
	s_cbranch_execz .LBB30_199
; %bb.198:                              ;   in Loop: Header=BB30_16 Depth=1
	s_waitcnt vmcnt(0)
	v_pk_mov_b32 v[0:1], v[44:45], v[44:45] op_sel:[0,1]
	v_or_b32_e32 v0, 0x10000, v1
	v_cmp_eq_u32_sdwa vcc, v1, v59 src0_sel:WORD_0 src1_sel:DWORD
	v_cndmask_b32_e32 v0, v0, v1, vcc
.LBB30_199:                             ;   in Loop: Header=BB30_16 Depth=1
	s_or_b64 exec, exec, s[6:7]
	v_add_u32_e32 v38, 3, v58
	v_mov_b32_e32 v39, v59
	v_lshlrev_b64 v[38:39], 1, v[38:39]
	s_waitcnt vmcnt(0) lgkmcnt(0)
	v_mov_b32_e32 v1, s25
	v_add_co_u32_e32 v38, vcc, s24, v38
	v_addc_co_u32_e32 v39, vcc, v1, v39, vcc
	global_store_short_d16_hi v[38:39], v0, off
	s_or_b64 exec, exec, s[4:5]
	s_and_saveexec_b64 s[4:5], s[10:11]
	s_cbranch_execz .LBB30_108
.LBB30_200:                             ;   in Loop: Header=BB30_16 Depth=1
	v_and_b32_e32 v0, 0x7f800000, v44
	v_cmp_ne_u32_e32 vcc, s43, v0
                                        ; implicit-def: $vgpr0
	s_and_saveexec_b64 s[6:7], vcc
	s_xor_b64 s[6:7], exec, s[6:7]
; %bb.201:                              ;   in Loop: Header=BB30_16 Depth=1
	v_bfe_u32 v0, v44, 16, 1
	v_add3_u32 v0, v44, v0, s42
                                        ; implicit-def: $vgpr44
; %bb.202:                              ;   in Loop: Header=BB30_16 Depth=1
	s_andn2_saveexec_b64 s[6:7], s[6:7]
; %bb.203:                              ;   in Loop: Header=BB30_16 Depth=1
	v_or_b32_e32 v0, 0x10000, v44
	v_cmp_eq_u32_sdwa vcc, v44, v59 src0_sel:WORD_0 src1_sel:DWORD
	v_cndmask_b32_e32 v0, v0, v44, vcc
; %bb.204:                              ;   in Loop: Header=BB30_16 Depth=1
	s_or_b64 exec, exec, s[6:7]
	v_add_u32_e32 v38, 4, v58
	v_mov_b32_e32 v39, v59
	v_lshlrev_b64 v[38:39], 1, v[38:39]
	s_waitcnt vmcnt(0) lgkmcnt(0)
	v_mov_b32_e32 v1, s25
	v_add_co_u32_e32 v38, vcc, s24, v38
	v_addc_co_u32_e32 v39, vcc, v1, v39, vcc
	global_store_short_d16_hi v[38:39], v0, off
	s_or_b64 exec, exec, s[4:5]
	s_and_saveexec_b64 s[4:5], s[12:13]
	s_cbranch_execz .LBB30_109
.LBB30_205:                             ;   in Loop: Header=BB30_16 Depth=1
	v_and_b32_e32 v0, 0x7f800000, v43
	v_cmp_ne_u32_e32 vcc, s43, v0
                                        ; implicit-def: $vgpr0
	s_and_saveexec_b64 s[6:7], vcc
	s_xor_b64 s[6:7], exec, s[6:7]
	s_cbranch_execz .LBB30_207
; %bb.206:                              ;   in Loop: Header=BB30_16 Depth=1
	s_waitcnt vmcnt(0)
	v_pk_mov_b32 v[0:1], v[42:43], v[42:43] op_sel:[0,1]
	v_bfe_u32 v0, v1, 16, 1
	v_add3_u32 v0, v1, v0, s42
.LBB30_207:                             ;   in Loop: Header=BB30_16 Depth=1
	s_andn2_saveexec_b64 s[6:7], s[6:7]
	s_cbranch_execz .LBB30_209
; %bb.208:                              ;   in Loop: Header=BB30_16 Depth=1
	s_waitcnt vmcnt(0)
	v_pk_mov_b32 v[0:1], v[42:43], v[42:43] op_sel:[0,1]
	v_or_b32_e32 v0, 0x10000, v1
	v_cmp_eq_u32_sdwa vcc, v1, v59 src0_sel:WORD_0 src1_sel:DWORD
	v_cndmask_b32_e32 v0, v0, v1, vcc
.LBB30_209:                             ;   in Loop: Header=BB30_16 Depth=1
	s_or_b64 exec, exec, s[6:7]
	v_add_u32_e32 v38, 5, v58
	v_mov_b32_e32 v39, v59
	v_lshlrev_b64 v[38:39], 1, v[38:39]
	s_waitcnt vmcnt(0) lgkmcnt(0)
	v_mov_b32_e32 v1, s25
	v_add_co_u32_e32 v38, vcc, s24, v38
	v_addc_co_u32_e32 v39, vcc, v1, v39, vcc
	global_store_short_d16_hi v[38:39], v0, off
	s_or_b64 exec, exec, s[4:5]
	s_and_b64 exec, exec, s[14:15]
	s_cbranch_execz .LBB30_215
.LBB30_210:                             ;   in Loop: Header=BB30_16 Depth=1
	v_and_b32_e32 v0, 0x7f800000, v42
	v_cmp_ne_u32_e32 vcc, s43, v0
                                        ; implicit-def: $vgpr0
	s_and_saveexec_b64 s[4:5], vcc
	s_xor_b64 s[4:5], exec, s[4:5]
; %bb.211:                              ;   in Loop: Header=BB30_16 Depth=1
	v_bfe_u32 v0, v42, 16, 1
	v_add3_u32 v0, v42, v0, s42
                                        ; implicit-def: $vgpr42
; %bb.212:                              ;   in Loop: Header=BB30_16 Depth=1
	s_andn2_saveexec_b64 s[4:5], s[4:5]
; %bb.213:                              ;   in Loop: Header=BB30_16 Depth=1
	v_or_b32_e32 v0, 0x10000, v42
	v_cmp_eq_u32_sdwa vcc, v42, v59 src0_sel:WORD_0 src1_sel:DWORD
	v_cndmask_b32_e32 v0, v0, v42, vcc
; %bb.214:                              ;   in Loop: Header=BB30_16 Depth=1
	s_or_b64 exec, exec, s[4:5]
	v_add_u32_e32 v58, 6, v58
	v_lshlrev_b64 v[38:39], 1, v[58:59]
	s_waitcnt vmcnt(0) lgkmcnt(0)
	v_mov_b32_e32 v1, s25
	v_add_co_u32_e32 v38, vcc, s24, v38
	v_addc_co_u32_e32 v39, vcc, v1, v39, vcc
	global_store_short_d16_hi v[38:39], v0, off
.LBB30_215:                             ;   in Loop: Header=BB30_16 Depth=1
	s_or_b64 exec, exec, s[30:31]
	buffer_load_dword v38, off, s[44:47], 0 offset:176 ; 4-byte Folded Reload
	buffer_load_dword v39, off, s[44:47], 0 offset:180 ; 4-byte Folded Reload
	s_waitcnt vmcnt(1)
	v_add_u32_e32 v38, s38, v38
	v_add_u32_e32 v0, 7, v38
	v_cmp_gt_u32_e32 vcc, s19, v38
	v_cmp_le_u32_e64 s[4:5], s19, v0
	s_and_b64 s[4:5], vcc, s[4:5]
	s_and_saveexec_b64 s[6:7], s[4:5]
	s_cbranch_execz .LBB30_15
; %bb.216:                              ;   in Loop: Header=BB30_16 Depth=1
	v_cmp_ne_u32_e32 vcc, s39, v38
	s_and_saveexec_b64 s[8:9], vcc
	s_cbranch_execz .LBB30_14
; %bb.217:                              ;   in Loop: Header=BB30_16 Depth=1
	v_subrev_u32_e32 v0, s39, v38
	v_cmp_lt_u32_e32 vcc, 1, v0
	v_cndmask_b32_e32 v0, 1, v0, vcc
	s_mov_b64 s[10:11], 0
	s_mov_b64 s[12:13], 0
.LBB30_218:                             ;   Parent Loop BB30_16 Depth=1
                                        ; =>  This Inner Loop Header: Depth=2
	s_cmp_lg_u32 s12, 6
	s_cselect_b64 vcc, -1, 0
	s_cmp_lg_u32 s12, 5
	v_cndmask_b32_e32 v8, 0, v8, vcc
	s_cselect_b64 vcc, -1, 0
	s_cmp_lg_u32 s12, 4
	v_cndmask_b32_e32 v7, 0, v7, vcc
	;; [unrolled: 3-line block ×6, first 2 shown]
	s_cselect_b64 vcc, -1, 0
	s_add_u32 s12, s12, 1
	s_addc_u32 s13, s13, 0
	v_cmp_eq_u32_e64 s[4:5], s12, v0
	s_or_b64 s[10:11], s[4:5], s[10:11]
	v_cndmask_b32_e32 v2, 0, v2, vcc
	s_andn2_b64 exec, exec, s[10:11]
	s_cbranch_execnz .LBB30_218
; %bb.219:                              ;   in Loop: Header=BB30_16 Depth=1
	s_or_b64 exec, exec, s[10:11]
	s_branch .LBB30_14
.LBB30_220:
	s_endpgm
	.section	.rodata,"a",@progbits
	.p2align	6, 0x0
	.amdhsa_kernel _Z12wvSplitK_hf_I14__hip_bfloat16Li64ELi7ELi16ELi8ELi1ELi4EEviiPKT_S3_PS1_ii
		.amdhsa_group_segment_fixed_size 65536
		.amdhsa_private_segment_fixed_size 192
		.amdhsa_kernarg_size 40
		.amdhsa_user_sgpr_count 6
		.amdhsa_user_sgpr_private_segment_buffer 1
		.amdhsa_user_sgpr_dispatch_ptr 0
		.amdhsa_user_sgpr_queue_ptr 0
		.amdhsa_user_sgpr_kernarg_segment_ptr 1
		.amdhsa_user_sgpr_dispatch_id 0
		.amdhsa_user_sgpr_flat_scratch_init 0
		.amdhsa_user_sgpr_kernarg_preload_length 0
		.amdhsa_user_sgpr_kernarg_preload_offset 0
		.amdhsa_user_sgpr_private_segment_size 0
		.amdhsa_uses_dynamic_stack 0
		.amdhsa_system_sgpr_private_segment_wavefront_offset 1
		.amdhsa_system_sgpr_workgroup_id_x 1
		.amdhsa_system_sgpr_workgroup_id_y 0
		.amdhsa_system_sgpr_workgroup_id_z 0
		.amdhsa_system_sgpr_workgroup_info 0
		.amdhsa_system_vgpr_workitem_id 1
		.amdhsa_next_free_vgpr 128
		.amdhsa_next_free_sgpr 48
		.amdhsa_accum_offset 128
		.amdhsa_reserve_vcc 1
		.amdhsa_reserve_flat_scratch 0
		.amdhsa_float_round_mode_32 0
		.amdhsa_float_round_mode_16_64 0
		.amdhsa_float_denorm_mode_32 3
		.amdhsa_float_denorm_mode_16_64 3
		.amdhsa_dx10_clamp 1
		.amdhsa_ieee_mode 1
		.amdhsa_fp16_overflow 0
		.amdhsa_tg_split 0
		.amdhsa_exception_fp_ieee_invalid_op 0
		.amdhsa_exception_fp_denorm_src 0
		.amdhsa_exception_fp_ieee_div_zero 0
		.amdhsa_exception_fp_ieee_overflow 0
		.amdhsa_exception_fp_ieee_underflow 0
		.amdhsa_exception_fp_ieee_inexact 0
		.amdhsa_exception_int_div_zero 0
	.end_amdhsa_kernel
	.section	.text._Z12wvSplitK_hf_I14__hip_bfloat16Li64ELi7ELi16ELi8ELi1ELi4EEviiPKT_S3_PS1_ii,"axG",@progbits,_Z12wvSplitK_hf_I14__hip_bfloat16Li64ELi7ELi16ELi8ELi1ELi4EEviiPKT_S3_PS1_ii,comdat
.Lfunc_end30:
	.size	_Z12wvSplitK_hf_I14__hip_bfloat16Li64ELi7ELi16ELi8ELi1ELi4EEviiPKT_S3_PS1_ii, .Lfunc_end30-_Z12wvSplitK_hf_I14__hip_bfloat16Li64ELi7ELi16ELi8ELi1ELi4EEviiPKT_S3_PS1_ii
                                        ; -- End function
	.section	.AMDGPU.csdata,"",@progbits
; Kernel info:
; codeLenInByte = 13992
; NumSgprs: 52
; NumVgprs: 128
; NumAgprs: 0
; TotalNumVgprs: 128
; ScratchSize: 192
; MemoryBound: 0
; FloatMode: 240
; IeeeMode: 1
; LDSByteSize: 65536 bytes/workgroup (compile time only)
; SGPRBlocks: 6
; VGPRBlocks: 15
; NumSGPRsForWavesPerEU: 52
; NumVGPRsForWavesPerEU: 128
; AccumOffset: 128
; Occupancy: 4
; WaveLimiterHint : 0
; COMPUTE_PGM_RSRC2:SCRATCH_EN: 1
; COMPUTE_PGM_RSRC2:USER_SGPR: 6
; COMPUTE_PGM_RSRC2:TRAP_HANDLER: 0
; COMPUTE_PGM_RSRC2:TGID_X_EN: 1
; COMPUTE_PGM_RSRC2:TGID_Y_EN: 0
; COMPUTE_PGM_RSRC2:TGID_Z_EN: 0
; COMPUTE_PGM_RSRC2:TIDIG_COMP_CNT: 1
; COMPUTE_PGM_RSRC3_GFX90A:ACCUM_OFFSET: 31
; COMPUTE_PGM_RSRC3_GFX90A:TG_SPLIT: 0
	.section	.text._Z16wvSplitK_hf_big_I14__hip_bfloat16Li64ELi7ELi16ELi8ELi1ELi4EEviiPKT_S3_PS1_ii,"axG",@progbits,_Z16wvSplitK_hf_big_I14__hip_bfloat16Li64ELi7ELi16ELi8ELi1ELi4EEviiPKT_S3_PS1_ii,comdat
	.protected	_Z16wvSplitK_hf_big_I14__hip_bfloat16Li64ELi7ELi16ELi8ELi1ELi4EEviiPKT_S3_PS1_ii ; -- Begin function _Z16wvSplitK_hf_big_I14__hip_bfloat16Li64ELi7ELi16ELi8ELi1ELi4EEviiPKT_S3_PS1_ii
	.globl	_Z16wvSplitK_hf_big_I14__hip_bfloat16Li64ELi7ELi16ELi8ELi1ELi4EEviiPKT_S3_PS1_ii
	.p2align	8
	.type	_Z16wvSplitK_hf_big_I14__hip_bfloat16Li64ELi7ELi16ELi8ELi1ELi4EEviiPKT_S3_PS1_ii,@function
_Z16wvSplitK_hf_big_I14__hip_bfloat16Li64ELi7ELi16ELi8ELi1ELi4EEviiPKT_S3_PS1_ii: ; @_Z16wvSplitK_hf_big_I14__hip_bfloat16Li64ELi7ELi16ELi8ELi1ELi4EEviiPKT_S3_PS1_ii
; %bb.0:
	s_mov_b64 s[54:55], s[2:3]
	s_mov_b64 s[52:53], s[0:1]
	s_load_dwordx2 s[2:3], s[4:5], 0x20
	s_add_u32 s52, s52, s7
	v_bfe_u32 v11, v0, 10, 10
	s_addc_u32 s53, s53, 0
	s_waitcnt lgkmcnt(0)
	v_cmp_gt_u32_e32 vcc, s2, v11
	s_and_saveexec_b64 s[0:1], vcc
	s_cbranch_execz .LBB31_204
; %bb.1:
	s_load_dwordx2 s[24:25], s[4:5], 0x0
	s_mul_i32 s6, s6, s2
	v_add_u32_e32 v1, s6, v11
	v_mul_lo_u32 v30, v1, 7
	v_add_u32_e32 v1, 7, v30
	s_mov_b32 s8, 1
	s_waitcnt lgkmcnt(0)
	v_cmp_gt_u32_e32 vcc, s25, v30
	v_cmp_le_u32_e64 s[0:1], s25, v1
	s_mov_b32 s9, s8
	s_mov_b32 s10, s8
	;; [unrolled: 1-line block ×6, first 2 shown]
	v_mov_b32_e32 v2, s8
	s_and_b64 s[6:7], vcc, s[0:1]
	v_mov_b32_e32 v3, s9
	v_mov_b32_e32 v4, s10
	;; [unrolled: 1-line block ×6, first 2 shown]
	s_and_saveexec_b64 s[0:1], s[6:7]
	s_cbranch_execz .LBB31_7
; %bb.2:
	s_add_i32 s15, s25, -7
	v_mov_b32_e32 v2, s8
	v_cmp_ne_u32_e32 vcc, s15, v30
	v_mov_b32_e32 v3, s9
	v_mov_b32_e32 v4, s10
	;; [unrolled: 1-line block ×6, first 2 shown]
	s_and_saveexec_b64 s[6:7], vcc
	s_cbranch_execz .LBB31_6
; %bb.3:
	v_subrev_u32_e32 v1, s15, v30
	v_cmp_lt_u32_e32 vcc, 1, v1
	v_cndmask_b32_e32 v10, 1, v1, vcc
	s_mov_b64 s[16:17], 0
	s_mov_b64 s[18:19], 0
	s_mov_b32 s9, s8
	s_mov_b32 s10, s8
	;; [unrolled: 1-line block ×6, first 2 shown]
.LBB31_4:                               ; =>This Inner Loop Header: Depth=1
	s_cmp_lg_u32 s18, 6
	s_cselect_b32 s14, s14, 0
	s_cmp_lg_u32 s18, 5
	s_cselect_b32 s13, s13, 0
	;; [unrolled: 2-line block ×7, first 2 shown]
	s_add_u32 s18, s18, 1
	s_addc_u32 s19, s19, 0
	v_cmp_eq_u32_e32 vcc, s18, v10
	v_mov_b32_e32 v2, s8
	s_or_b64 s[16:17], vcc, s[16:17]
	v_mov_b32_e32 v3, s9
	v_mov_b32_e32 v4, s10
	;; [unrolled: 1-line block ×6, first 2 shown]
	s_andn2_b64 exec, exec, s[16:17]
	s_cbranch_execnz .LBB31_4
; %bb.5:
	s_or_b64 exec, exec, s[16:17]
	v_mov_b32_e32 v30, s15
.LBB31_6:
	s_or_b64 exec, exec, s[6:7]
.LBB31_7:
	s_or_b64 exec, exec, s[0:1]
	s_mul_i32 s44, s2, 7
	s_abs_i32 s0, s44
	v_cvt_f32_u32_e32 v1, s0
	s_sub_i32 s7, 0, s0
	s_abs_i32 s6, s25
	s_ashr_i32 s1, s25, 31
	v_rcp_iflag_f32_e32 v1, v1
	v_mul_f32_e32 v1, 0x4f7ffffe, v1
	v_cvt_u32_f32_e32 v1, v1
	v_readfirstlane_b32 s8, v1
	s_mul_i32 s7, s7, s8
	s_mul_hi_u32 s7, s8, s7
	s_add_i32 s8, s8, s7
	s_mul_hi_u32 s7, s6, s8
	s_mul_i32 s7, s7, s0
	s_sub_i32 s6, s6, s7
	s_sub_i32 s7, s6, s0
	s_cmp_ge_u32 s6, s0
	s_cselect_b32 s6, s7, s6
	s_sub_i32 s7, s6, s0
	s_cmp_ge_u32 s6, s0
	s_cselect_b32 s0, s7, s6
	s_xor_b32 s0, s0, s1
	s_sub_i32 s0, s0, s1
	s_add_i32 s1, s44, s25
	s_sub_i32 s1, s1, s0
	s_cmp_eq_u32 s0, 0
	s_cselect_b32 s33, s25, s1
	v_cmp_gt_u32_e32 vcc, s33, v30
	s_and_b64 exec, exec, vcc
	s_cbranch_execz .LBB31_204
; %bb.8:
	s_load_dwordx4 s[20:23], s[4:5], 0x8
	s_load_dwordx2 s[26:27], s[4:5], 0x18
	s_mov_b32 s0, 0
	v_cvt_f64_i32_e32 v[12:13], s24
	s_mov_b32 s1, 0x40c00000
	s_cmp_lg_u32 s24, 0
	v_and_b32_e32 v0, 0x3ff, v0
	v_min_f64 v[12:13], v[12:13], s[0:1]
	v_lshlrev_b32_e32 v1, 3, v0
	s_cselect_b64 s[4:5], -1, 0
	v_cmp_eq_u32_e64 s[0:1], 63, v0
	s_ashr_i32 s7, s24, 31
	s_mov_b32 s6, s24
	v_lshlrev_b32_e32 v0, 4, v0
	s_lshl_b32 s43, s2, 9
	s_add_i32 s45, s25, -7
	s_lshl_b64 s[28:29], s[6:7], 1
	v_lshl_add_u32 v112, v11, 10, v0
	v_lshl_add_u32 v0, v11, 9, v1
	v_cvt_u32_f64_e32 v10, v[12:13]
	s_waitcnt lgkmcnt(0)
	s_add_u32 s46, s26, 2
	v_lshl_add_u32 v11, s24, 1, v0
	s_mul_i32 s44, s44, s3
	s_addc_u32 s47, s27, 0
	s_lshl_b32 s48, s2, 10
	buffer_store_dword v11, off, s[52:55], 0 ; 4-byte Folded Spill
	v_mad_u64_u32 v[12:13], s[2:3], s24, 3, v[0:1]
	v_add_u32_e32 v11, s24, v0
	v_cmp_ne_u32_e32 vcc, 0, v10
	v_readfirstlane_b32 s42, v10
	v_mul_lo_u32 v9, v10, 6
	v_lshlrev_b32_e32 v113, 2, v10
	v_lshlrev_b32_e32 v114, 1, v10
	buffer_store_dword v12, off, s[52:55], 0 offset:4 ; 4-byte Folded Spill
	s_nop 0
	buffer_store_dword v13, off, s[52:55], 0 offset:8 ; 4-byte Folded Spill
	buffer_store_dword v11, off, s[52:55], 0 offset:12 ; 4-byte Folded Spill
	v_cndmask_b32_e64 v11, 0, 1, s[4:5]
	v_cndmask_b32_e64 v10, 0, 1, vcc
	s_mov_b64 s[30:31], 0
	v_cmp_ne_u32_e64 s[2:3], 1, v11
	v_cmp_ne_u32_e64 s[4:5], 1, v10
	v_mov_b32_e32 v35, 0
	s_lshl_b32 s49, s42, 1
	s_mov_b32 s50, 0x7f800000
	s_movk_i32 s51, 0x7fff
	s_branch .LBB31_12
.LBB31_9:                               ;   in Loop: Header=BB31_12 Depth=1
	s_or_b64 exec, exec, s[10:11]
	v_mov_b32_e32 v30, s45
.LBB31_10:                              ;   in Loop: Header=BB31_12 Depth=1
	s_or_b64 exec, exec, s[8:9]
.LBB31_11:                              ;   in Loop: Header=BB31_12 Depth=1
	s_or_b64 exec, exec, s[34:35]
	v_cmp_le_u32_e32 vcc, s33, v30
	s_or_b64 s[30:31], vcc, s[30:31]
	s_andn2_b64 exec, exec, s[30:31]
	s_cbranch_execz .LBB31_204
.LBB31_12:                              ; =>This Loop Header: Depth=1
                                        ;     Child Loop BB31_16 Depth 2
                                        ;       Child Loop BB31_21 Depth 3
                                        ;     Child Loop BB31_202 Depth 2
	s_and_b64 vcc, exec, s[2:3]
	v_mov_b32_e32 v37, v35
	v_mov_b32_e32 v36, v35
	;; [unrolled: 1-line block ×28, first 2 shown]
	s_cbranch_vccnz .LBB31_27
; %bb.13:                               ;   in Loop: Header=BB31_12 Depth=1
	v_mov_b32_e32 v62, 0
	v_cmp_gt_u32_e64 s[6:7], s25, v30
	v_mul_lo_u32 v115, v30, s24
	s_mov_b32 s14, 0
	s_mov_b32 s15, 0
	v_mov_b32_e32 v63, v62
	v_mov_b32_e32 v60, v62
	;; [unrolled: 1-line block ×27, first 2 shown]
	s_waitcnt vmcnt(0)
	buffer_store_dword v30, off, s[52:55], 0 offset:16 ; 4-byte Folded Spill
	s_nop 0
	buffer_store_dword v31, off, s[52:55], 0 offset:20 ; 4-byte Folded Spill
	s_branch .LBB31_16
.LBB31_14:                              ;   in Loop: Header=BB31_16 Depth=2
	s_or_b64 exec, exec, s[10:11]
.LBB31_15:                              ;   in Loop: Header=BB31_16 Depth=2
	s_or_b64 exec, exec, s[8:9]
	s_addk_i32 s15, 0x200
	s_cmp_ge_u32 s15, s24
	s_cbranch_scc1 .LBB31_27
.LBB31_16:                              ;   Parent Loop BB31_12 Depth=1
                                        ; =>  This Loop Header: Depth=2
                                        ;       Child Loop BB31_21 Depth 3
	s_cmp_eq_u32 s15, 0
	s_cselect_b64 s[8:9], -1, 0
	s_add_i32 s10, s14, s42
	s_cmp_eq_u32 s15, s10
	s_cselect_b64 s[12:13], -1, 0
	s_or_b64 s[12:13], s[8:9], s[12:13]
	s_andn2_b64 vcc, exec, s[12:13]
	s_cbranch_vccz .LBB31_18
; %bb.17:                               ;   in Loop: Header=BB31_16 Depth=2
	s_and_saveexec_b64 s[8:9], s[6:7]
	s_cbranch_execz .LBB31_15
	s_branch .LBB31_25
.LBB31_18:                              ;   in Loop: Header=BB31_16 Depth=2
	s_and_b64 s[8:9], s[8:9], exec
	s_cselect_b32 s14, s14, s10
	s_and_b64 vcc, exec, s[4:5]
	s_barrier
	s_cbranch_vccnz .LBB31_24
; %bb.19:                               ;   in Loop: Header=BB31_16 Depth=2
	buffer_load_dword v10, off, s[52:55], 0 ; 4-byte Folded Reload
	buffer_load_dword v12, off, s[52:55], 0 offset:4 ; 4-byte Folded Reload
	buffer_load_dword v13, off, s[52:55], 0 offset:8 ; 4-byte Folded Reload
	s_waitcnt vmcnt(0)
	v_add_u32_e32 v13, s14, v0
	s_mov_b32 s16, 0
	s_mov_b64 s[10:11], 0
	v_mov_b32_e32 v14, v112
                                        ; implicit-def: $sgpr12_sgpr13
	v_add_u32_e32 v10, s14, v10
	v_add_u32_e32 v11, s14, v12
	buffer_load_dword v12, off, s[52:55], 0 offset:12 ; 4-byte Folded Reload
	s_waitcnt vmcnt(0)
	v_add_u32_e32 v12, s14, v12
	s_branch .LBB31_21
.LBB31_20:                              ;   in Loop: Header=BB31_21 Depth=3
	s_or_b64 exec, exec, s[8:9]
	s_and_b64 s[8:9], exec, s[12:13]
	s_or_b64 s[10:11], s[8:9], s[10:11]
	s_andn2_b64 exec, exec, s[10:11]
	s_cbranch_execz .LBB31_23
.LBB31_21:                              ;   Parent Loop BB31_12 Depth=1
                                        ;     Parent Loop BB31_16 Depth=2
                                        ; =>    This Inner Loop Header: Depth=3
	v_add_u32_e32 v15, s16, v0
	v_add_u32_e32 v34, s16, v13
	v_cmp_gt_u32_e32 vcc, s24, v34
	v_cmp_gt_u32_e64 s[8:9], s42, v15
	s_and_b64 s[18:19], vcc, s[8:9]
	s_or_b64 s[12:13], s[12:13], exec
	s_and_saveexec_b64 s[8:9], s[18:19]
	s_cbranch_execz .LBB31_20
; %bb.22:                               ;   in Loop: Header=BB31_21 Depth=3
	v_lshlrev_b64 v[16:17], 1, v[34:35]
	v_mov_b32_e32 v15, s23
	v_add_co_u32_e32 v16, vcc, s22, v16
	v_add_u32_e32 v34, s16, v12
	v_addc_co_u32_e32 v17, vcc, v15, v17, vcc
	v_lshlrev_b64 v[18:19], 1, v[34:35]
	v_add_co_u32_e32 v20, vcc, s22, v18
	v_add_u32_e32 v34, s16, v10
	v_addc_co_u32_e32 v21, vcc, v15, v19, vcc
	v_lshlrev_b64 v[24:25], 1, v[34:35]
	v_add_co_u32_e32 v24, vcc, s22, v24
	v_add_u32_e32 v34, s16, v11
	global_load_dwordx4 v[16:19], v[16:17], off
	s_nop 0
	global_load_dwordx4 v[20:23], v[20:21], off
	v_addc_co_u32_e32 v25, vcc, v15, v25, vcc
	v_lshlrev_b64 v[28:29], 1, v[34:35]
	global_load_dwordx4 v[24:27], v[24:25], off
	v_add_co_u32_e32 v28, vcc, s22, v28
	v_addc_co_u32_e32 v29, vcc, v15, v29, vcc
	global_load_dwordx4 v[64:67], v[28:29], off
	s_add_i32 s16, s16, s43
	s_cmp_ge_u32 s16, s42
	s_cselect_b64 s[18:19], -1, 0
	s_andn2_b64 s[12:13], s[12:13], exec
	s_and_b64 s[18:19], s[18:19], exec
	v_add_u32_e32 v15, v14, v114
	v_add_u32_e32 v28, v14, v113
	;; [unrolled: 1-line block ×3, first 2 shown]
	s_or_b64 s[12:13], s[12:13], s[18:19]
	s_waitcnt vmcnt(3)
	ds_write_b128 v14, v[16:19]
	v_add_u32_e32 v14, s48, v14
	s_waitcnt vmcnt(2)
	ds_write2_b64 v15, v[20:21], v[22:23] offset1:1
	s_waitcnt vmcnt(1)
	ds_write2_b32 v28, v24, v25 offset1:1
	ds_write2_b32 v28, v26, v27 offset0:2 offset1:3
	s_waitcnt vmcnt(0)
	ds_write2_b64 v29, v[64:65], v[66:67] offset1:1
	s_branch .LBB31_20
.LBB31_23:                              ;   in Loop: Header=BB31_16 Depth=2
	s_or_b64 exec, exec, s[10:11]
.LBB31_24:                              ;   in Loop: Header=BB31_16 Depth=2
	s_waitcnt lgkmcnt(0)
	s_barrier
	s_and_saveexec_b64 s[8:9], s[6:7]
	s_cbranch_execz .LBB31_15
.LBB31_25:                              ;   in Loop: Header=BB31_16 Depth=2
	v_add_u32_e32 v64, s15, v1
	v_cmp_gt_u32_e32 vcc, s24, v64
	s_and_saveexec_b64 s[10:11], vcc
	s_cbranch_execz .LBB31_14
; %bb.26:                               ;   in Loop: Header=BB31_16 Depth=2
	v_add_u32_e32 v34, v64, v115
	v_lshlrev_b64 v[10:11], 1, v[34:35]
	v_add_co_u32_e32 v10, vcc, s20, v10
	v_mov_b32_e32 v12, s21
	v_addc_co_u32_e32 v11, vcc, v12, v11, vcc
	global_load_dwordx4 v[66:69], v[10:11], off glc slc
	v_add_co_u32_e32 v10, vcc, s28, v10
	v_mov_b32_e32 v12, s29
	v_addc_co_u32_e32 v11, vcc, v11, v12, vcc
	global_load_dwordx4 v[70:73], v[10:11], off glc slc
	v_add_co_u32_e32 v10, vcc, s28, v10
	v_addc_co_u32_e32 v11, vcc, v11, v12, vcc
	global_load_dwordx4 v[26:29], v[10:11], off glc slc
	v_add_co_u32_e32 v10, vcc, s28, v10
	;; [unrolled: 3-line block ×5, first 2 shown]
	v_addc_co_u32_e32 v11, vcc, v11, v12, vcc
	global_load_dwordx4 v[10:13], v[10:11], off glc slc
	s_waitcnt vmcnt(8)
	v_subrev_u32_e32 v30, s14, v64
	v_lshlrev_b32_e32 v30, 1, v30
	ds_read_b128 v[82:85], v30
	v_add_u32_e32 v117, s49, v30
	v_add_u32_e32 v116, s49, v117
	;; [unrolled: 1-line block ×3, first 2 shown]
	s_waitcnt lgkmcnt(0)
	v_and_b32_e32 v99, 0xffff0000, v82
	v_lshlrev_b32_e32 v98, 16, v82
	v_and_b32_e32 v101, 0xffff0000, v83
	v_lshlrev_b32_e32 v100, 16, v83
	;; [unrolled: 2-line block ×4, first 2 shown]
	s_waitcnt vmcnt(6)
	v_and_b32_e32 v81, 0xffff0000, v66
	v_lshlrev_b32_e32 v80, 16, v66
	v_pk_mul_f32 v[86:87], v[98:99], v[80:81]
	v_and_b32_e32 v79, 0xffff0000, v67
	v_lshlrev_b32_e32 v78, 16, v67
	v_mov_b32_e32 v96, v86
	s_waitcnt vmcnt(5)
	v_and_b32_e32 v65, 0xffff0000, v70
	v_lshlrev_b32_e32 v64, 16, v70
	v_pk_mul_f32 v[90:91], v[98:99], v[64:65]
	v_and_b32_e32 v67, 0xffff0000, v71
	v_lshlrev_b32_e32 v66, 16, v71
	v_mov_b32_e32 v97, v90
	v_mov_b32_e32 v90, v87
	v_pk_mul_f32 v[82:83], v[100:101], v[78:79]
	v_pk_mul_f32 v[92:93], v[100:101], v[66:67]
	v_pk_add_f32 v[86:87], v[96:97], v[90:91]
	v_and_b32_e32 v77, 0xffff0000, v68
	v_lshlrev_b32_e32 v76, 16, v68
	v_and_b32_e32 v75, 0xffff0000, v69
	v_lshlrev_b32_e32 v74, 16, v69
	;; [unrolled: 2-line block ×3, first 2 shown]
	v_pk_add_f32 v[62:63], v[62:63], v[86:87]
	v_mov_b32_e32 v86, v82
	v_mov_b32_e32 v87, v92
	;; [unrolled: 1-line block ×3, first 2 shown]
	v_pk_mul_f32 v[88:89], v[102:103], v[76:77]
	v_pk_mul_f32 v[94:95], v[102:103], v[68:69]
	v_pk_add_f32 v[82:83], v[86:87], v[92:93]
	v_and_b32_e32 v71, 0xffff0000, v73
	v_lshlrev_b32_e32 v70, 16, v73
	v_pk_add_f32 v[62:63], v[62:63], v[82:83]
	v_mov_b32_e32 v82, v88
	v_mov_b32_e32 v83, v94
	;; [unrolled: 1-line block ×3, first 2 shown]
	v_pk_mul_f32 v[84:85], v[104:105], v[74:75]
	v_pk_mul_f32 v[72:73], v[104:105], v[70:71]
	v_pk_add_f32 v[82:83], v[82:83], v[94:95]
	v_pk_add_f32 v[62:63], v[62:63], v[82:83]
	v_mov_b32_e32 v82, v84
	v_mov_b32_e32 v83, v72
	;; [unrolled: 1-line block ×3, first 2 shown]
	v_pk_add_f32 v[72:73], v[82:83], v[72:73]
	s_waitcnt vmcnt(4)
	v_and_b32_e32 v83, 0xffff0000, v26
	v_lshlrev_b32_e32 v82, 16, v26
	v_and_b32_e32 v85, 0xffff0000, v27
	v_lshlrev_b32_e32 v84, 16, v27
	s_waitcnt vmcnt(3)
	v_and_b32_e32 v27, 0xffff0000, v22
	v_lshlrev_b32_e32 v26, 16, v22
	v_pk_mul_f32 v[90:91], v[98:99], v[82:83]
	v_pk_mul_f32 v[106:107], v[98:99], v[26:27]
	v_and_b32_e32 v87, 0xffff0000, v28
	v_lshlrev_b32_e32 v86, 16, v28
	v_and_b32_e32 v89, 0xffff0000, v29
	v_lshlrev_b32_e32 v88, 16, v29
	;; [unrolled: 2-line block ×3, first 2 shown]
	v_mov_b32_e32 v118, v90
	v_mov_b32_e32 v119, v106
	;; [unrolled: 1-line block ×3, first 2 shown]
	v_pk_mul_f32 v[92:93], v[100:101], v[84:85]
	v_pk_mul_f32 v[108:109], v[100:101], v[28:29]
	v_pk_add_f32 v[90:91], v[118:119], v[106:107]
	v_and_b32_e32 v23, 0xffff0000, v24
	v_lshlrev_b32_e32 v22, 16, v24
	v_pk_add_f32 v[60:61], v[60:61], v[90:91]
	v_mov_b32_e32 v90, v92
	v_mov_b32_e32 v91, v108
	;; [unrolled: 1-line block ×3, first 2 shown]
	v_pk_mul_f32 v[94:95], v[102:103], v[86:87]
	v_pk_mul_f32 v[110:111], v[102:103], v[22:23]
	v_pk_add_f32 v[90:91], v[90:91], v[108:109]
	v_pk_add_f32 v[62:63], v[62:63], v[72:73]
	v_and_b32_e32 v73, 0xffff0000, v25
	v_lshlrev_b32_e32 v72, 16, v25
	v_pk_add_f32 v[60:61], v[60:61], v[90:91]
	v_mov_b32_e32 v90, v94
	v_mov_b32_e32 v91, v110
	;; [unrolled: 1-line block ×3, first 2 shown]
	v_pk_mul_f32 v[96:97], v[104:105], v[88:89]
	v_pk_mul_f32 v[24:25], v[104:105], v[72:73]
	v_pk_add_f32 v[90:91], v[90:91], v[110:111]
	v_pk_add_f32 v[60:61], v[60:61], v[90:91]
	v_mov_b32_e32 v90, v96
	v_mov_b32_e32 v91, v24
	;; [unrolled: 1-line block ×3, first 2 shown]
	v_pk_add_f32 v[24:25], v[90:91], v[24:25]
	s_waitcnt vmcnt(2)
	v_and_b32_e32 v91, 0xffff0000, v18
	v_lshlrev_b32_e32 v90, 16, v18
	v_and_b32_e32 v93, 0xffff0000, v19
	v_lshlrev_b32_e32 v92, 16, v19
	s_waitcnt vmcnt(1)
	v_and_b32_e32 v19, 0xffff0000, v14
	v_lshlrev_b32_e32 v18, 16, v14
	v_pk_mul_f32 v[106:107], v[98:99], v[90:91]
	v_pk_mul_f32 v[120:121], v[98:99], v[18:19]
	v_and_b32_e32 v95, 0xffff0000, v20
	v_lshlrev_b32_e32 v94, 16, v20
	v_and_b32_e32 v97, 0xffff0000, v21
	v_lshlrev_b32_e32 v96, 16, v21
	;; [unrolled: 2-line block ×3, first 2 shown]
	v_mov_b32_e32 v126, v106
	v_mov_b32_e32 v127, v120
	;; [unrolled: 1-line block ×3, first 2 shown]
	v_pk_mul_f32 v[108:109], v[100:101], v[92:93]
	v_pk_mul_f32 v[122:123], v[100:101], v[20:21]
	v_pk_add_f32 v[106:107], v[126:127], v[120:121]
	v_and_b32_e32 v15, 0xffff0000, v16
	v_lshlrev_b32_e32 v14, 16, v16
	v_pk_add_f32 v[58:59], v[58:59], v[106:107]
	v_mov_b32_e32 v106, v108
	v_mov_b32_e32 v107, v122
	;; [unrolled: 1-line block ×3, first 2 shown]
	v_pk_mul_f32 v[110:111], v[102:103], v[94:95]
	v_pk_mul_f32 v[124:125], v[102:103], v[14:15]
	v_pk_add_f32 v[106:107], v[106:107], v[122:123]
	v_pk_add_f32 v[60:61], v[60:61], v[24:25]
	v_and_b32_e32 v25, 0xffff0000, v17
	v_lshlrev_b32_e32 v24, 16, v17
	v_pk_add_f32 v[58:59], v[58:59], v[106:107]
	v_mov_b32_e32 v106, v110
	v_mov_b32_e32 v107, v124
	;; [unrolled: 1-line block ×3, first 2 shown]
	v_pk_mul_f32 v[118:119], v[104:105], v[96:97]
	v_pk_mul_f32 v[16:17], v[104:105], v[24:25]
	v_pk_add_f32 v[106:107], v[106:107], v[124:125]
	v_pk_add_f32 v[58:59], v[58:59], v[106:107]
	v_mov_b32_e32 v106, v118
	v_mov_b32_e32 v107, v16
	;; [unrolled: 1-line block ×3, first 2 shown]
	v_pk_add_f32 v[16:17], v[106:107], v[16:17]
	v_pk_add_f32 v[58:59], v[58:59], v[16:17]
	s_waitcnt vmcnt(0)
	v_and_b32_e32 v17, 0xffff0000, v10
	v_lshlrev_b32_e32 v16, 16, v10
	v_pk_mul_f32 v[30:31], v[98:99], v[16:17]
	v_and_b32_e32 v99, 0xffff0000, v11
	v_lshlrev_b32_e32 v98, 16, v11
	v_pk_mul_f32 v[108:109], v[100:101], v[98:99]
	;; [unrolled: 3-line block ×3, first 2 shown]
	v_and_b32_e32 v103, 0xffff0000, v13
	v_lshlrev_b32_e32 v102, 16, v13
	ds_read_b128 v[10:13], v117
	v_mov_b32_e32 v110, v30
	v_pk_mul_f32 v[104:105], v[104:105], v[102:103]
	s_waitcnt lgkmcnt(0)
	v_and_b32_e32 v119, 0xffff0000, v10
	v_lshlrev_b32_e32 v118, 16, v10
	v_pk_mul_f32 v[120:121], v[118:119], v[80:81]
	v_and_b32_e32 v123, 0xffff0000, v11
	v_lshlrev_b32_e32 v122, 16, v11
	v_mov_b32_e32 v111, v120
	v_mov_b32_e32 v120, v31
	v_pk_mul_f32 v[10:11], v[122:123], v[78:79]
	v_pk_add_f32 v[30:31], v[110:111], v[120:121]
	v_and_b32_e32 v125, 0xffff0000, v12
	v_lshlrev_b32_e32 v124, 16, v12
	v_pk_add_f32 v[30:31], v[56:57], v[30:31]
	v_mov_b32_e32 v56, v108
	v_mov_b32_e32 v57, v10
	;; [unrolled: 1-line block ×3, first 2 shown]
	v_pk_mul_f32 v[126:127], v[124:125], v[76:77]
	v_pk_add_f32 v[10:11], v[56:57], v[10:11]
	v_and_b32_e32 v33, 0xffff0000, v13
	v_lshlrev_b32_e32 v32, 16, v13
	v_pk_add_f32 v[10:11], v[30:31], v[10:11]
	v_mov_b32_e32 v30, v106
	v_mov_b32_e32 v31, v126
	;; [unrolled: 1-line block ×3, first 2 shown]
	v_pk_mul_f32 v[12:13], v[32:33], v[74:75]
	v_pk_add_f32 v[30:31], v[30:31], v[126:127]
	v_pk_add_f32 v[10:11], v[10:11], v[30:31]
	v_mov_b32_e32 v30, v104
	v_mov_b32_e32 v31, v12
	v_mov_b32_e32 v12, v105
	v_pk_add_f32 v[12:13], v[30:31], v[12:13]
	v_pk_add_f32 v[56:57], v[10:11], v[12:13]
	v_pk_mul_f32 v[10:11], v[118:119], v[64:65]
	v_pk_mul_f32 v[106:107], v[118:119], v[82:83]
	v_mov_b32_e32 v126, v10
	v_mov_b32_e32 v127, v106
	v_mov_b32_e32 v106, v11
	v_pk_mul_f32 v[12:13], v[122:123], v[66:67]
	v_pk_mul_f32 v[108:109], v[122:123], v[84:85]
	v_pk_add_f32 v[10:11], v[126:127], v[106:107]
	v_pk_add_f32 v[10:11], v[54:55], v[10:11]
	v_mov_b32_e32 v54, v12
	v_mov_b32_e32 v55, v108
	v_mov_b32_e32 v108, v13
	v_pk_mul_f32 v[30:31], v[124:125], v[68:69]
	v_pk_mul_f32 v[110:111], v[124:125], v[86:87]
	v_pk_add_f32 v[12:13], v[54:55], v[108:109]
	v_pk_add_f32 v[10:11], v[10:11], v[12:13]
	v_mov_b32_e32 v12, v30
	v_mov_b32_e32 v13, v110
	v_mov_b32_e32 v110, v31
	v_pk_mul_f32 v[104:105], v[32:33], v[70:71]
	v_pk_mul_f32 v[120:121], v[32:33], v[88:89]
	v_pk_add_f32 v[12:13], v[12:13], v[110:111]
	v_pk_add_f32 v[10:11], v[10:11], v[12:13]
	v_mov_b32_e32 v12, v104
	v_mov_b32_e32 v13, v120
	v_mov_b32_e32 v120, v105
	v_pk_add_f32 v[12:13], v[12:13], v[120:121]
	v_pk_add_f32 v[54:55], v[10:11], v[12:13]
	v_pk_mul_f32 v[10:11], v[118:119], v[26:27]
	v_pk_mul_f32 v[106:107], v[118:119], v[90:91]
	v_mov_b32_e32 v126, v10
	v_mov_b32_e32 v127, v106
	v_mov_b32_e32 v106, v11
	v_pk_mul_f32 v[12:13], v[122:123], v[28:29]
	v_pk_mul_f32 v[108:109], v[122:123], v[92:93]
	v_pk_add_f32 v[10:11], v[126:127], v[106:107]
	v_pk_add_f32 v[10:11], v[52:53], v[10:11]
	v_mov_b32_e32 v52, v12
	v_mov_b32_e32 v53, v108
	v_mov_b32_e32 v108, v13
	v_pk_mul_f32 v[30:31], v[124:125], v[22:23]
	v_pk_mul_f32 v[110:111], v[124:125], v[94:95]
	v_pk_add_f32 v[12:13], v[52:53], v[108:109]
	v_pk_add_f32 v[10:11], v[10:11], v[12:13]
	v_mov_b32_e32 v12, v30
	v_mov_b32_e32 v13, v110
	v_mov_b32_e32 v110, v31
	v_pk_mul_f32 v[104:105], v[32:33], v[72:73]
	;; [unrolled: 28-line block ×3, first 2 shown]
	v_pk_mul_f32 v[32:33], v[32:33], v[102:103]
	v_pk_add_f32 v[12:13], v[12:13], v[110:111]
	v_pk_add_f32 v[10:11], v[10:11], v[12:13]
	v_mov_b32_e32 v12, v104
	v_mov_b32_e32 v13, v32
	;; [unrolled: 1-line block ×3, first 2 shown]
	v_pk_add_f32 v[12:13], v[12:13], v[32:33]
	v_pk_add_f32 v[50:51], v[10:11], v[12:13]
	ds_read_b128 v[10:13], v116
	s_waitcnt lgkmcnt(0)
	v_and_b32_e32 v31, 0xffff0000, v10
	v_lshlrev_b32_e32 v30, 16, v10
	v_pk_mul_f32 v[32:33], v[30:31], v[80:81]
	v_pk_mul_f32 v[110:111], v[30:31], v[64:65]
	v_and_b32_e32 v105, 0xffff0000, v11
	v_lshlrev_b32_e32 v104, 16, v11
	v_mov_b32_e32 v124, v32
	v_mov_b32_e32 v125, v110
	;; [unrolled: 1-line block ×3, first 2 shown]
	v_pk_mul_f32 v[10:11], v[104:105], v[78:79]
	v_pk_mul_f32 v[118:119], v[104:105], v[66:67]
	v_pk_add_f32 v[32:33], v[124:125], v[110:111]
	v_and_b32_e32 v107, 0xffff0000, v12
	v_lshlrev_b32_e32 v106, 16, v12
	v_pk_add_f32 v[32:33], v[48:49], v[32:33]
	v_mov_b32_e32 v48, v10
	v_mov_b32_e32 v49, v118
	;; [unrolled: 1-line block ×3, first 2 shown]
	v_pk_mul_f32 v[108:109], v[106:107], v[76:77]
	v_pk_mul_f32 v[120:121], v[106:107], v[68:69]
	v_pk_add_f32 v[10:11], v[48:49], v[118:119]
	v_and_b32_e32 v117, 0xffff0000, v13
	v_lshlrev_b32_e32 v116, 16, v13
	v_pk_add_f32 v[10:11], v[32:33], v[10:11]
	v_mov_b32_e32 v32, v108
	v_mov_b32_e32 v33, v120
	;; [unrolled: 1-line block ×3, first 2 shown]
	v_pk_mul_f32 v[12:13], v[116:117], v[74:75]
	v_pk_mul_f32 v[122:123], v[116:117], v[70:71]
	v_pk_add_f32 v[32:33], v[32:33], v[120:121]
	v_pk_add_f32 v[10:11], v[10:11], v[32:33]
	v_mov_b32_e32 v32, v12
	v_mov_b32_e32 v33, v122
	;; [unrolled: 1-line block ×3, first 2 shown]
	v_pk_add_f32 v[12:13], v[32:33], v[122:123]
	v_pk_add_f32 v[48:49], v[10:11], v[12:13]
	v_pk_mul_f32 v[10:11], v[30:31], v[82:83]
	v_pk_mul_f32 v[110:111], v[30:31], v[26:27]
	v_mov_b32_e32 v124, v10
	v_mov_b32_e32 v125, v110
	v_mov_b32_e32 v110, v11
	v_pk_mul_f32 v[12:13], v[104:105], v[84:85]
	v_pk_mul_f32 v[118:119], v[104:105], v[28:29]
	v_pk_add_f32 v[10:11], v[124:125], v[110:111]
	v_pk_add_f32 v[10:11], v[46:47], v[10:11]
	v_mov_b32_e32 v46, v12
	v_mov_b32_e32 v47, v118
	v_mov_b32_e32 v118, v13
	v_pk_mul_f32 v[32:33], v[106:107], v[86:87]
	v_pk_mul_f32 v[120:121], v[106:107], v[22:23]
	v_pk_add_f32 v[12:13], v[46:47], v[118:119]
	v_pk_add_f32 v[10:11], v[10:11], v[12:13]
	;; [unrolled: 7-line block ×3, first 2 shown]
	v_mov_b32_e32 v12, v108
	v_mov_b32_e32 v13, v122
	;; [unrolled: 1-line block ×3, first 2 shown]
	v_pk_add_f32 v[12:13], v[12:13], v[122:123]
	v_pk_add_f32 v[46:47], v[10:11], v[12:13]
	v_pk_mul_f32 v[10:11], v[30:31], v[90:91]
	v_pk_mul_f32 v[110:111], v[30:31], v[18:19]
	v_mov_b32_e32 v124, v10
	v_mov_b32_e32 v125, v110
	v_mov_b32_e32 v110, v11
	v_pk_mul_f32 v[12:13], v[104:105], v[92:93]
	v_pk_mul_f32 v[118:119], v[104:105], v[20:21]
	v_pk_add_f32 v[10:11], v[124:125], v[110:111]
	v_pk_add_f32 v[10:11], v[44:45], v[10:11]
	v_mov_b32_e32 v44, v12
	v_mov_b32_e32 v45, v118
	v_mov_b32_e32 v118, v13
	v_pk_mul_f32 v[32:33], v[106:107], v[94:95]
	v_pk_mul_f32 v[120:121], v[106:107], v[14:15]
	v_pk_add_f32 v[12:13], v[44:45], v[118:119]
	v_pk_add_f32 v[10:11], v[10:11], v[12:13]
	;; [unrolled: 7-line block ×3, first 2 shown]
	v_mov_b32_e32 v12, v108
	v_mov_b32_e32 v13, v122
	;; [unrolled: 1-line block ×3, first 2 shown]
	v_pk_add_f32 v[12:13], v[12:13], v[122:123]
	v_pk_add_f32 v[44:45], v[10:11], v[12:13]
	ds_read_b128 v[10:13], v34
	v_pk_mul_f32 v[110:111], v[30:31], v[16:17]
	v_pk_mul_f32 v[108:109], v[104:105], v[98:99]
	;; [unrolled: 1-line block ×4, first 2 shown]
	s_waitcnt lgkmcnt(0)
	v_and_b32_e32 v31, 0xffff0000, v10
	v_lshlrev_b32_e32 v30, 16, v10
	v_pk_mul_f32 v[32:33], v[30:31], v[80:81]
	v_and_b32_e32 v81, 0xffff0000, v11
	v_lshlrev_b32_e32 v80, 16, v11
	v_and_b32_e32 v117, 0xffff0000, v13
	v_lshlrev_b32_e32 v116, 16, v13
	v_pk_mul_f32 v[10:11], v[80:81], v[78:79]
	v_and_b32_e32 v79, 0xffff0000, v12
	v_lshlrev_b32_e32 v78, 16, v12
	v_pk_mul_f32 v[12:13], v[116:117], v[74:75]
	v_mov_b32_e32 v74, v110
	v_mov_b32_e32 v75, v32
	;; [unrolled: 1-line block ×3, first 2 shown]
	v_pk_add_f32 v[32:33], v[74:75], v[32:33]
	v_pk_add_f32 v[32:33], v[42:43], v[32:33]
	v_mov_b32_e32 v42, v108
	v_mov_b32_e32 v43, v10
	;; [unrolled: 1-line block ×3, first 2 shown]
	v_pk_mul_f32 v[76:77], v[78:79], v[76:77]
	v_pk_add_f32 v[10:11], v[42:43], v[10:11]
	v_pk_add_f32 v[10:11], v[32:33], v[10:11]
	v_mov_b32_e32 v32, v106
	v_mov_b32_e32 v33, v76
	;; [unrolled: 1-line block ×3, first 2 shown]
	v_pk_add_f32 v[32:33], v[32:33], v[76:77]
	v_pk_add_f32 v[10:11], v[10:11], v[32:33]
	v_mov_b32_e32 v32, v104
	v_mov_b32_e32 v33, v12
	v_mov_b32_e32 v12, v105
	v_pk_add_f32 v[12:13], v[32:33], v[12:13]
	v_pk_add_f32 v[42:43], v[10:11], v[12:13]
	v_pk_mul_f32 v[10:11], v[30:31], v[64:65]
	v_pk_mul_f32 v[12:13], v[80:81], v[66:67]
	;; [unrolled: 1-line block ×3, first 2 shown]
	v_mov_b32_e32 v76, v10
	v_mov_b32_e32 v77, v66
	;; [unrolled: 1-line block ×3, first 2 shown]
	v_pk_mul_f32 v[32:33], v[78:79], v[68:69]
	v_pk_mul_f32 v[68:69], v[80:81], v[84:85]
	v_pk_add_f32 v[10:11], v[76:77], v[66:67]
	v_pk_add_f32 v[10:11], v[40:41], v[10:11]
	v_mov_b32_e32 v40, v12
	v_mov_b32_e32 v41, v68
	;; [unrolled: 1-line block ×3, first 2 shown]
	v_pk_mul_f32 v[64:65], v[116:117], v[70:71]
	v_pk_mul_f32 v[70:71], v[78:79], v[86:87]
	v_pk_add_f32 v[12:13], v[40:41], v[68:69]
	v_pk_add_f32 v[10:11], v[10:11], v[12:13]
	v_mov_b32_e32 v12, v32
	v_mov_b32_e32 v13, v70
	;; [unrolled: 1-line block ×3, first 2 shown]
	v_pk_mul_f32 v[74:75], v[116:117], v[88:89]
	v_pk_add_f32 v[12:13], v[12:13], v[70:71]
	v_pk_add_f32 v[10:11], v[10:11], v[12:13]
	v_mov_b32_e32 v12, v64
	v_mov_b32_e32 v13, v74
	;; [unrolled: 1-line block ×3, first 2 shown]
	v_pk_add_f32 v[12:13], v[12:13], v[74:75]
	v_pk_add_f32 v[40:41], v[10:11], v[12:13]
	v_pk_mul_f32 v[10:11], v[30:31], v[26:27]
	v_pk_mul_f32 v[12:13], v[80:81], v[28:29]
	;; [unrolled: 1-line block ×4, first 2 shown]
	v_mov_b32_e32 v68, v10
	v_mov_b32_e32 v69, v28
	;; [unrolled: 1-line block ×3, first 2 shown]
	v_pk_add_f32 v[10:11], v[68:69], v[28:29]
	v_mov_b32_e32 v28, v12
	v_mov_b32_e32 v29, v32
	;; [unrolled: 1-line block ×3, first 2 shown]
	v_pk_mul_f32 v[22:23], v[78:79], v[22:23]
	v_pk_mul_f32 v[64:65], v[78:79], v[94:95]
	v_pk_add_f32 v[10:11], v[38:39], v[10:11]
	v_pk_add_f32 v[12:13], v[28:29], v[32:33]
	;; [unrolled: 1-line block ×3, first 2 shown]
	v_mov_b32_e32 v12, v22
	v_mov_b32_e32 v13, v64
	;; [unrolled: 1-line block ×3, first 2 shown]
	v_pk_mul_f32 v[26:27], v[116:117], v[72:73]
	v_pk_mul_f32 v[66:67], v[116:117], v[96:97]
	v_pk_add_f32 v[12:13], v[12:13], v[64:65]
	v_pk_add_f32 v[10:11], v[10:11], v[12:13]
	v_mov_b32_e32 v12, v26
	v_mov_b32_e32 v13, v66
	;; [unrolled: 1-line block ×3, first 2 shown]
	v_pk_add_f32 v[12:13], v[12:13], v[66:67]
	v_pk_add_f32 v[38:39], v[10:11], v[12:13]
	v_pk_mul_f32 v[10:11], v[30:31], v[18:19]
	v_pk_mul_f32 v[16:17], v[30:31], v[16:17]
	buffer_load_dword v30, off, s[52:55], 0 offset:16 ; 4-byte Folded Reload
	buffer_load_dword v31, off, s[52:55], 0 offset:20 ; 4-byte Folded Reload
	v_pk_mul_f32 v[12:13], v[80:81], v[20:21]
	v_pk_mul_f32 v[20:21], v[80:81], v[98:99]
	v_mov_b32_e32 v26, v10
	v_mov_b32_e32 v27, v16
	;; [unrolled: 1-line block ×3, first 2 shown]
	v_pk_add_f32 v[10:11], v[26:27], v[16:17]
	v_mov_b32_e32 v16, v12
	v_mov_b32_e32 v17, v20
	;; [unrolled: 1-line block ×3, first 2 shown]
	v_pk_mul_f32 v[14:15], v[78:79], v[14:15]
	v_pk_mul_f32 v[22:23], v[78:79], v[100:101]
	v_pk_add_f32 v[10:11], v[36:37], v[10:11]
	v_pk_add_f32 v[12:13], v[16:17], v[20:21]
	;; [unrolled: 1-line block ×3, first 2 shown]
	v_mov_b32_e32 v12, v14
	v_mov_b32_e32 v13, v22
	;; [unrolled: 1-line block ×3, first 2 shown]
	v_pk_mul_f32 v[18:19], v[116:117], v[24:25]
	v_pk_mul_f32 v[24:25], v[116:117], v[102:103]
	v_pk_add_f32 v[12:13], v[12:13], v[22:23]
	v_pk_add_f32 v[10:11], v[10:11], v[12:13]
	v_mov_b32_e32 v12, v18
	v_mov_b32_e32 v13, v24
	;; [unrolled: 1-line block ×3, first 2 shown]
	v_pk_add_f32 v[12:13], v[12:13], v[24:25]
	v_pk_add_f32 v[36:37], v[10:11], v[12:13]
	s_branch .LBB31_14
.LBB31_27:                              ;   in Loop: Header=BB31_12 Depth=1
	s_waitcnt vmcnt(1)
	v_cmp_le_u32_e32 vcc, s25, v30
	s_and_saveexec_b64 s[6:7], vcc
	s_xor_b64 s[6:7], exec, s[6:7]
; %bb.28:                               ;   in Loop: Header=BB31_12 Depth=1
	v_add_u32_e32 v30, s44, v30
                                        ; implicit-def: $vgpr37
                                        ; implicit-def: $vgpr39
                                        ; implicit-def: $vgpr41
                                        ; implicit-def: $vgpr43
                                        ; implicit-def: $vgpr45
                                        ; implicit-def: $vgpr47
                                        ; implicit-def: $vgpr49
                                        ; implicit-def: $vgpr51
                                        ; implicit-def: $vgpr53
                                        ; implicit-def: $vgpr55
                                        ; implicit-def: $vgpr57
                                        ; implicit-def: $vgpr59
                                        ; implicit-def: $vgpr61
                                        ; implicit-def: $vgpr63
; %bb.29:                               ;   in Loop: Header=BB31_12 Depth=1
	s_andn2_saveexec_b64 s[34:35], s[6:7]
	s_cbranch_execz .LBB31_11
; %bb.30:                               ;   in Loop: Header=BB31_12 Depth=1
	;;#ASMSTART
	s_nop 0
	v_add_f32 v62, v62, v62 row_shr:8 bound_ctrl:0 
	;;#ASMEND
	;;#ASMSTART
	s_nop 0
	v_add_f32 v63, v63, v63 row_shr:8 bound_ctrl:0 
	;;#ASMEND
	;; [unrolled: 4-line block ×84, first 2 shown]
	;;#ASMSTART
	s_nop 0
	v_add_f32 v62, v62, v62 wave_shr:1 bound_ctrl:0
	;;#ASMEND
	;;#ASMSTART
	s_nop 0
	v_add_f32 v63, v63, v63 wave_shr:1 bound_ctrl:0
	;;#ASMEND
	;; [unrolled: 4-line block ×28, first 2 shown]
	;;#ASMSTART
	s_nop 0
	v_add_f32 v62, v62, v62 row_bcast:15 bound_ctrl:0
	;;#ASMEND
	;;#ASMSTART
	s_nop 0
	v_add_f32 v63, v63, v63 row_bcast:15 bound_ctrl:0
	;;#ASMEND
	;; [unrolled: 4-line block ×56, first 2 shown]
	s_and_saveexec_b64 s[36:37], s[0:1]
	s_cbranch_execz .LBB31_199
; %bb.31:                               ;   in Loop: Header=BB31_12 Depth=1
	v_cmp_ne_u32_e32 vcc, 0, v2
	s_and_saveexec_b64 s[8:9], vcc
	s_cbranch_execnz .LBB31_59
; %bb.32:                               ;   in Loop: Header=BB31_12 Depth=1
	s_or_b64 exec, exec, s[8:9]
	v_cmp_ne_u32_e64 s[6:7], 0, v3
	s_and_saveexec_b64 s[10:11], s[6:7]
	s_cbranch_execnz .LBB31_64
.LBB31_33:                              ;   in Loop: Header=BB31_12 Depth=1
	s_or_b64 exec, exec, s[10:11]
	v_cmp_ne_u32_e64 s[8:9], 0, v4
	s_and_saveexec_b64 s[12:13], s[8:9]
	s_cbranch_execnz .LBB31_69
.LBB31_34:                              ;   in Loop: Header=BB31_12 Depth=1
	s_or_b64 exec, exec, s[12:13]
	v_cmp_ne_u32_e64 s[10:11], 0, v5
	s_and_saveexec_b64 s[14:15], s[10:11]
	s_cbranch_execnz .LBB31_74
.LBB31_35:                              ;   in Loop: Header=BB31_12 Depth=1
	s_or_b64 exec, exec, s[14:15]
	v_cmp_ne_u32_e64 s[12:13], 0, v6
	s_and_saveexec_b64 s[16:17], s[12:13]
	s_cbranch_execnz .LBB31_79
.LBB31_36:                              ;   in Loop: Header=BB31_12 Depth=1
	s_or_b64 exec, exec, s[16:17]
	v_cmp_ne_u32_e64 s[14:15], 0, v7
	s_and_saveexec_b64 s[18:19], s[14:15]
	s_cbranch_execnz .LBB31_84
.LBB31_37:                              ;   in Loop: Header=BB31_12 Depth=1
	s_or_b64 exec, exec, s[18:19]
	v_cmp_ne_u32_e64 s[16:17], 0, v8
	s_and_saveexec_b64 s[38:39], s[16:17]
	s_cbranch_execnz .LBB31_89
.LBB31_38:                              ;   in Loop: Header=BB31_12 Depth=1
	s_or_b64 exec, exec, s[38:39]
	v_add_u32_e32 v34, s25, v30
	s_and_saveexec_b64 s[38:39], vcc
	s_cbranch_execnz .LBB31_94
.LBB31_39:                              ;   in Loop: Header=BB31_12 Depth=1
	s_or_b64 exec, exec, s[38:39]
	s_and_saveexec_b64 s[38:39], s[6:7]
	s_cbranch_execnz .LBB31_99
.LBB31_40:                              ;   in Loop: Header=BB31_12 Depth=1
	s_or_b64 exec, exec, s[38:39]
	s_and_saveexec_b64 s[38:39], s[8:9]
	s_cbranch_execnz .LBB31_104
.LBB31_41:                              ;   in Loop: Header=BB31_12 Depth=1
	s_or_b64 exec, exec, s[38:39]
	s_and_saveexec_b64 s[38:39], s[10:11]
	s_cbranch_execnz .LBB31_109
.LBB31_42:                              ;   in Loop: Header=BB31_12 Depth=1
	s_or_b64 exec, exec, s[38:39]
	s_and_saveexec_b64 s[38:39], s[12:13]
	s_cbranch_execnz .LBB31_114
.LBB31_43:                              ;   in Loop: Header=BB31_12 Depth=1
	s_or_b64 exec, exec, s[38:39]
	s_and_saveexec_b64 s[38:39], s[14:15]
	s_cbranch_execnz .LBB31_119
.LBB31_44:                              ;   in Loop: Header=BB31_12 Depth=1
	s_or_b64 exec, exec, s[38:39]
	s_and_saveexec_b64 s[38:39], s[16:17]
	s_cbranch_execnz .LBB31_124
.LBB31_45:                              ;   in Loop: Header=BB31_12 Depth=1
	s_or_b64 exec, exec, s[38:39]
	v_add_u32_e32 v34, s25, v34
	s_and_saveexec_b64 s[38:39], vcc
	s_cbranch_execnz .LBB31_129
.LBB31_46:                              ;   in Loop: Header=BB31_12 Depth=1
	s_or_b64 exec, exec, s[38:39]
	s_and_saveexec_b64 s[38:39], s[6:7]
	s_cbranch_execnz .LBB31_134
.LBB31_47:                              ;   in Loop: Header=BB31_12 Depth=1
	s_or_b64 exec, exec, s[38:39]
	s_and_saveexec_b64 s[38:39], s[8:9]
	s_cbranch_execnz .LBB31_139
.LBB31_48:                              ;   in Loop: Header=BB31_12 Depth=1
	s_or_b64 exec, exec, s[38:39]
	s_and_saveexec_b64 s[38:39], s[10:11]
	s_cbranch_execnz .LBB31_144
.LBB31_49:                              ;   in Loop: Header=BB31_12 Depth=1
	s_or_b64 exec, exec, s[38:39]
	s_and_saveexec_b64 s[38:39], s[12:13]
	s_cbranch_execnz .LBB31_149
.LBB31_50:                              ;   in Loop: Header=BB31_12 Depth=1
	s_or_b64 exec, exec, s[38:39]
	s_and_saveexec_b64 s[38:39], s[14:15]
	s_cbranch_execnz .LBB31_154
.LBB31_51:                              ;   in Loop: Header=BB31_12 Depth=1
	s_or_b64 exec, exec, s[38:39]
	s_and_saveexec_b64 s[38:39], s[16:17]
	s_cbranch_execnz .LBB31_159
.LBB31_52:                              ;   in Loop: Header=BB31_12 Depth=1
	s_or_b64 exec, exec, s[38:39]
	v_add_u32_e32 v34, s25, v34
	s_and_saveexec_b64 s[18:19], vcc
	s_cbranch_execnz .LBB31_164
.LBB31_53:                              ;   in Loop: Header=BB31_12 Depth=1
	s_or_b64 exec, exec, s[18:19]
	s_and_saveexec_b64 s[18:19], s[6:7]
	s_cbranch_execnz .LBB31_169
.LBB31_54:                              ;   in Loop: Header=BB31_12 Depth=1
	s_or_b64 exec, exec, s[18:19]
	s_and_saveexec_b64 s[6:7], s[8:9]
	s_cbranch_execnz .LBB31_174
.LBB31_55:                              ;   in Loop: Header=BB31_12 Depth=1
	s_or_b64 exec, exec, s[6:7]
	s_and_saveexec_b64 s[6:7], s[10:11]
	s_cbranch_execnz .LBB31_179
.LBB31_56:                              ;   in Loop: Header=BB31_12 Depth=1
	s_or_b64 exec, exec, s[6:7]
	s_and_saveexec_b64 s[6:7], s[12:13]
	s_cbranch_execnz .LBB31_184
.LBB31_57:                              ;   in Loop: Header=BB31_12 Depth=1
	s_or_b64 exec, exec, s[6:7]
	s_and_saveexec_b64 s[6:7], s[14:15]
	s_cbranch_execnz .LBB31_189
.LBB31_58:                              ;   in Loop: Header=BB31_12 Depth=1
	s_or_b64 exec, exec, s[6:7]
	s_and_b64 exec, exec, s[16:17]
	s_cbranch_execnz .LBB31_194
	s_branch .LBB31_199
.LBB31_59:                              ;   in Loop: Header=BB31_12 Depth=1
	v_and_b32_e32 v10, 0x7f800000, v62
	v_cmp_ne_u32_e64 s[6:7], s50, v10
                                        ; implicit-def: $vgpr10
	s_and_saveexec_b64 s[10:11], s[6:7]
	s_xor_b64 s[6:7], exec, s[10:11]
; %bb.60:                               ;   in Loop: Header=BB31_12 Depth=1
	v_bfe_u32 v10, v62, 16, 1
	v_add3_u32 v10, v62, v10, s51
; %bb.61:                               ;   in Loop: Header=BB31_12 Depth=1
	s_andn2_saveexec_b64 s[10:11], s[6:7]
; %bb.62:                               ;   in Loop: Header=BB31_12 Depth=1
	v_or_b32_e32 v10, 0x10000, v62
	v_cmp_eq_u32_sdwa s[6:7], v62, v35 src0_sel:WORD_0 src1_sel:DWORD
	v_cndmask_b32_e64 v10, v10, v62, s[6:7]
; %bb.63:                               ;   in Loop: Header=BB31_12 Depth=1
	s_or_b64 exec, exec, s[10:11]
	s_waitcnt vmcnt(0)
	v_mov_b32_e32 v31, v35
	v_lshlrev_b64 v[12:13], 1, v[30:31]
	v_mov_b32_e32 v11, s27
	v_add_co_u32_e64 v12, s[6:7], s26, v12
	v_addc_co_u32_e64 v13, s[6:7], v11, v13, s[6:7]
	global_store_short_d16_hi v[12:13], v10, off
	s_or_b64 exec, exec, s[8:9]
	v_cmp_ne_u32_e64 s[6:7], 0, v3
	s_and_saveexec_b64 s[10:11], s[6:7]
	s_cbranch_execz .LBB31_33
.LBB31_64:                              ;   in Loop: Header=BB31_12 Depth=1
	v_and_b32_e32 v10, 0x7f800000, v63
	v_cmp_ne_u32_e64 s[8:9], s50, v10
                                        ; implicit-def: $vgpr10
	s_and_saveexec_b64 s[12:13], s[8:9]
	s_xor_b64 s[8:9], exec, s[12:13]
; %bb.65:                               ;   in Loop: Header=BB31_12 Depth=1
	v_bfe_u32 v10, v63, 16, 1
	v_add3_u32 v10, v63, v10, s51
                                        ; implicit-def: $vgpr63
; %bb.66:                               ;   in Loop: Header=BB31_12 Depth=1
	s_andn2_saveexec_b64 s[12:13], s[8:9]
; %bb.67:                               ;   in Loop: Header=BB31_12 Depth=1
	v_or_b32_e32 v10, 0x10000, v63
	v_cmp_eq_u32_sdwa s[8:9], v63, v35 src0_sel:WORD_0 src1_sel:DWORD
	v_cndmask_b32_e64 v10, v10, v63, s[8:9]
; %bb.68:                               ;   in Loop: Header=BB31_12 Depth=1
	s_or_b64 exec, exec, s[12:13]
	s_waitcnt vmcnt(0)
	v_mov_b32_e32 v31, v35
	v_lshlrev_b64 v[12:13], 1, v[30:31]
	v_mov_b32_e32 v11, s47
	v_add_co_u32_e64 v12, s[8:9], s46, v12
	v_addc_co_u32_e64 v13, s[8:9], v11, v13, s[8:9]
	global_store_short_d16_hi v[12:13], v10, off
	s_or_b64 exec, exec, s[10:11]
	v_cmp_ne_u32_e64 s[8:9], 0, v4
	s_and_saveexec_b64 s[12:13], s[8:9]
	s_cbranch_execz .LBB31_34
.LBB31_69:                              ;   in Loop: Header=BB31_12 Depth=1
	v_and_b32_e32 v10, 0x7f800000, v60
	v_cmp_ne_u32_e64 s[10:11], s50, v10
                                        ; implicit-def: $vgpr10
	s_and_saveexec_b64 s[14:15], s[10:11]
	s_xor_b64 s[10:11], exec, s[14:15]
; %bb.70:                               ;   in Loop: Header=BB31_12 Depth=1
	v_bfe_u32 v10, v60, 16, 1
	v_add3_u32 v10, v60, v10, s51
; %bb.71:                               ;   in Loop: Header=BB31_12 Depth=1
	s_andn2_saveexec_b64 s[14:15], s[10:11]
; %bb.72:                               ;   in Loop: Header=BB31_12 Depth=1
	v_or_b32_e32 v10, 0x10000, v60
	v_cmp_eq_u32_sdwa s[10:11], v60, v35 src0_sel:WORD_0 src1_sel:DWORD
	v_cndmask_b32_e64 v10, v10, v60, s[10:11]
; %bb.73:                               ;   in Loop: Header=BB31_12 Depth=1
	s_or_b64 exec, exec, s[14:15]
	v_add_u32_e32 v34, 2, v30
	v_lshlrev_b64 v[12:13], 1, v[34:35]
	v_mov_b32_e32 v11, s27
	v_add_co_u32_e64 v12, s[10:11], s26, v12
	v_addc_co_u32_e64 v13, s[10:11], v11, v13, s[10:11]
	global_store_short_d16_hi v[12:13], v10, off
	s_or_b64 exec, exec, s[12:13]
	v_cmp_ne_u32_e64 s[10:11], 0, v5
	s_and_saveexec_b64 s[14:15], s[10:11]
	s_cbranch_execz .LBB31_35
.LBB31_74:                              ;   in Loop: Header=BB31_12 Depth=1
	v_and_b32_e32 v10, 0x7f800000, v61
	v_cmp_ne_u32_e64 s[12:13], s50, v10
                                        ; implicit-def: $vgpr10
	s_and_saveexec_b64 s[16:17], s[12:13]
	s_xor_b64 s[12:13], exec, s[16:17]
; %bb.75:                               ;   in Loop: Header=BB31_12 Depth=1
	v_bfe_u32 v10, v61, 16, 1
	v_add3_u32 v10, v61, v10, s51
                                        ; implicit-def: $vgpr61
; %bb.76:                               ;   in Loop: Header=BB31_12 Depth=1
	s_andn2_saveexec_b64 s[16:17], s[12:13]
; %bb.77:                               ;   in Loop: Header=BB31_12 Depth=1
	v_or_b32_e32 v10, 0x10000, v61
	v_cmp_eq_u32_sdwa s[12:13], v61, v35 src0_sel:WORD_0 src1_sel:DWORD
	v_cndmask_b32_e64 v10, v10, v61, s[12:13]
; %bb.78:                               ;   in Loop: Header=BB31_12 Depth=1
	s_or_b64 exec, exec, s[16:17]
	v_add_u32_e32 v34, 3, v30
	v_lshlrev_b64 v[12:13], 1, v[34:35]
	v_mov_b32_e32 v11, s27
	v_add_co_u32_e64 v12, s[12:13], s26, v12
	v_addc_co_u32_e64 v13, s[12:13], v11, v13, s[12:13]
	global_store_short_d16_hi v[12:13], v10, off
	s_or_b64 exec, exec, s[14:15]
	v_cmp_ne_u32_e64 s[12:13], 0, v6
	s_and_saveexec_b64 s[16:17], s[12:13]
	s_cbranch_execz .LBB31_36
.LBB31_79:                              ;   in Loop: Header=BB31_12 Depth=1
	v_and_b32_e32 v10, 0x7f800000, v58
	v_cmp_ne_u32_e64 s[14:15], s50, v10
                                        ; implicit-def: $vgpr10
	s_and_saveexec_b64 s[18:19], s[14:15]
	s_xor_b64 s[14:15], exec, s[18:19]
; %bb.80:                               ;   in Loop: Header=BB31_12 Depth=1
	v_bfe_u32 v10, v58, 16, 1
	v_add3_u32 v10, v58, v10, s51
; %bb.81:                               ;   in Loop: Header=BB31_12 Depth=1
	s_andn2_saveexec_b64 s[18:19], s[14:15]
; %bb.82:                               ;   in Loop: Header=BB31_12 Depth=1
	v_or_b32_e32 v10, 0x10000, v58
	v_cmp_eq_u32_sdwa s[14:15], v58, v35 src0_sel:WORD_0 src1_sel:DWORD
	v_cndmask_b32_e64 v10, v10, v58, s[14:15]
; %bb.83:                               ;   in Loop: Header=BB31_12 Depth=1
	s_or_b64 exec, exec, s[18:19]
	v_add_u32_e32 v34, 4, v30
	v_lshlrev_b64 v[12:13], 1, v[34:35]
	v_mov_b32_e32 v11, s27
	v_add_co_u32_e64 v12, s[14:15], s26, v12
	v_addc_co_u32_e64 v13, s[14:15], v11, v13, s[14:15]
	global_store_short_d16_hi v[12:13], v10, off
	s_or_b64 exec, exec, s[16:17]
	v_cmp_ne_u32_e64 s[14:15], 0, v7
	s_and_saveexec_b64 s[18:19], s[14:15]
	s_cbranch_execz .LBB31_37
.LBB31_84:                              ;   in Loop: Header=BB31_12 Depth=1
	v_and_b32_e32 v10, 0x7f800000, v59
	v_cmp_ne_u32_e64 s[16:17], s50, v10
                                        ; implicit-def: $vgpr10
	s_and_saveexec_b64 s[38:39], s[16:17]
	s_xor_b64 s[16:17], exec, s[38:39]
; %bb.85:                               ;   in Loop: Header=BB31_12 Depth=1
	v_bfe_u32 v10, v59, 16, 1
	v_add3_u32 v10, v59, v10, s51
                                        ; implicit-def: $vgpr59
; %bb.86:                               ;   in Loop: Header=BB31_12 Depth=1
	s_andn2_saveexec_b64 s[38:39], s[16:17]
; %bb.87:                               ;   in Loop: Header=BB31_12 Depth=1
	v_or_b32_e32 v10, 0x10000, v59
	v_cmp_eq_u32_sdwa s[16:17], v59, v35 src0_sel:WORD_0 src1_sel:DWORD
	v_cndmask_b32_e64 v10, v10, v59, s[16:17]
; %bb.88:                               ;   in Loop: Header=BB31_12 Depth=1
	s_or_b64 exec, exec, s[38:39]
	v_add_u32_e32 v34, 5, v30
	v_lshlrev_b64 v[12:13], 1, v[34:35]
	v_mov_b32_e32 v11, s27
	v_add_co_u32_e64 v12, s[16:17], s26, v12
	v_addc_co_u32_e64 v13, s[16:17], v11, v13, s[16:17]
	global_store_short_d16_hi v[12:13], v10, off
	s_or_b64 exec, exec, s[18:19]
	v_cmp_ne_u32_e64 s[16:17], 0, v8
	s_and_saveexec_b64 s[38:39], s[16:17]
	s_cbranch_execz .LBB31_38
.LBB31_89:                              ;   in Loop: Header=BB31_12 Depth=1
	v_and_b32_e32 v10, 0x7f800000, v56
	v_cmp_ne_u32_e64 s[18:19], s50, v10
                                        ; implicit-def: $vgpr10
	s_and_saveexec_b64 s[40:41], s[18:19]
	s_xor_b64 s[18:19], exec, s[40:41]
; %bb.90:                               ;   in Loop: Header=BB31_12 Depth=1
	v_bfe_u32 v10, v56, 16, 1
	v_add3_u32 v10, v56, v10, s51
; %bb.91:                               ;   in Loop: Header=BB31_12 Depth=1
	s_andn2_saveexec_b64 s[40:41], s[18:19]
; %bb.92:                               ;   in Loop: Header=BB31_12 Depth=1
	v_or_b32_e32 v10, 0x10000, v56
	v_cmp_eq_u32_sdwa s[18:19], v56, v35 src0_sel:WORD_0 src1_sel:DWORD
	v_cndmask_b32_e64 v10, v10, v56, s[18:19]
; %bb.93:                               ;   in Loop: Header=BB31_12 Depth=1
	s_or_b64 exec, exec, s[40:41]
	v_add_u32_e32 v34, 6, v30
	v_lshlrev_b64 v[12:13], 1, v[34:35]
	v_mov_b32_e32 v11, s27
	v_add_co_u32_e64 v12, s[18:19], s26, v12
	v_addc_co_u32_e64 v13, s[18:19], v11, v13, s[18:19]
	global_store_short_d16_hi v[12:13], v10, off
	s_or_b64 exec, exec, s[38:39]
	v_add_u32_e32 v34, s25, v30
	s_and_saveexec_b64 s[38:39], vcc
	s_cbranch_execz .LBB31_39
.LBB31_94:                              ;   in Loop: Header=BB31_12 Depth=1
	v_and_b32_e32 v10, 0x7f800000, v57
	v_cmp_ne_u32_e64 s[18:19], s50, v10
                                        ; implicit-def: $vgpr10
	s_and_saveexec_b64 s[40:41], s[18:19]
	s_xor_b64 s[18:19], exec, s[40:41]
; %bb.95:                               ;   in Loop: Header=BB31_12 Depth=1
	v_bfe_u32 v10, v57, 16, 1
	v_add3_u32 v10, v57, v10, s51
                                        ; implicit-def: $vgpr57
; %bb.96:                               ;   in Loop: Header=BB31_12 Depth=1
	s_andn2_saveexec_b64 s[40:41], s[18:19]
; %bb.97:                               ;   in Loop: Header=BB31_12 Depth=1
	v_or_b32_e32 v10, 0x10000, v57
	v_cmp_eq_u32_sdwa s[18:19], v57, v35 src0_sel:WORD_0 src1_sel:DWORD
	v_cndmask_b32_e64 v10, v10, v57, s[18:19]
; %bb.98:                               ;   in Loop: Header=BB31_12 Depth=1
	s_or_b64 exec, exec, s[40:41]
	v_lshlrev_b64 v[12:13], 1, v[34:35]
	v_mov_b32_e32 v11, s27
	v_add_co_u32_e64 v12, s[18:19], s26, v12
	v_addc_co_u32_e64 v13, s[18:19], v11, v13, s[18:19]
	global_store_short_d16_hi v[12:13], v10, off
	s_or_b64 exec, exec, s[38:39]
	s_and_saveexec_b64 s[38:39], s[6:7]
	s_cbranch_execz .LBB31_40
.LBB31_99:                              ;   in Loop: Header=BB31_12 Depth=1
	v_and_b32_e32 v10, 0x7f800000, v54
	v_cmp_ne_u32_e64 s[18:19], s50, v10
                                        ; implicit-def: $vgpr10
	s_and_saveexec_b64 s[40:41], s[18:19]
	s_xor_b64 s[18:19], exec, s[40:41]
; %bb.100:                              ;   in Loop: Header=BB31_12 Depth=1
	v_bfe_u32 v10, v54, 16, 1
	v_add3_u32 v10, v54, v10, s51
; %bb.101:                              ;   in Loop: Header=BB31_12 Depth=1
	s_andn2_saveexec_b64 s[40:41], s[18:19]
; %bb.102:                              ;   in Loop: Header=BB31_12 Depth=1
	v_or_b32_e32 v10, 0x10000, v54
	v_cmp_eq_u32_sdwa s[18:19], v54, v35 src0_sel:WORD_0 src1_sel:DWORD
	v_cndmask_b32_e64 v10, v10, v54, s[18:19]
; %bb.103:                              ;   in Loop: Header=BB31_12 Depth=1
	s_or_b64 exec, exec, s[40:41]
	v_add_u32_e32 v12, 1, v34
	v_mov_b32_e32 v13, v35
	v_lshlrev_b64 v[12:13], 1, v[12:13]
	v_mov_b32_e32 v11, s27
	v_add_co_u32_e64 v12, s[18:19], s26, v12
	v_addc_co_u32_e64 v13, s[18:19], v11, v13, s[18:19]
	global_store_short_d16_hi v[12:13], v10, off
	s_or_b64 exec, exec, s[38:39]
	s_and_saveexec_b64 s[38:39], s[8:9]
	s_cbranch_execz .LBB31_41
.LBB31_104:                             ;   in Loop: Header=BB31_12 Depth=1
	v_and_b32_e32 v10, 0x7f800000, v55
	v_cmp_ne_u32_e64 s[18:19], s50, v10
                                        ; implicit-def: $vgpr10
	s_and_saveexec_b64 s[40:41], s[18:19]
	s_xor_b64 s[18:19], exec, s[40:41]
; %bb.105:                              ;   in Loop: Header=BB31_12 Depth=1
	v_bfe_u32 v10, v55, 16, 1
	v_add3_u32 v10, v55, v10, s51
                                        ; implicit-def: $vgpr55
; %bb.106:                              ;   in Loop: Header=BB31_12 Depth=1
	s_andn2_saveexec_b64 s[40:41], s[18:19]
; %bb.107:                              ;   in Loop: Header=BB31_12 Depth=1
	v_or_b32_e32 v10, 0x10000, v55
	v_cmp_eq_u32_sdwa s[18:19], v55, v35 src0_sel:WORD_0 src1_sel:DWORD
	v_cndmask_b32_e64 v10, v10, v55, s[18:19]
; %bb.108:                              ;   in Loop: Header=BB31_12 Depth=1
	s_or_b64 exec, exec, s[40:41]
	v_add_u32_e32 v12, 2, v34
	v_mov_b32_e32 v13, v35
	v_lshlrev_b64 v[12:13], 1, v[12:13]
	v_mov_b32_e32 v11, s27
	v_add_co_u32_e64 v12, s[18:19], s26, v12
	v_addc_co_u32_e64 v13, s[18:19], v11, v13, s[18:19]
	global_store_short_d16_hi v[12:13], v10, off
	s_or_b64 exec, exec, s[38:39]
	s_and_saveexec_b64 s[38:39], s[10:11]
	s_cbranch_execz .LBB31_42
.LBB31_109:                             ;   in Loop: Header=BB31_12 Depth=1
	v_and_b32_e32 v10, 0x7f800000, v52
	v_cmp_ne_u32_e64 s[18:19], s50, v10
                                        ; implicit-def: $vgpr10
	s_and_saveexec_b64 s[40:41], s[18:19]
	s_xor_b64 s[18:19], exec, s[40:41]
; %bb.110:                              ;   in Loop: Header=BB31_12 Depth=1
	v_bfe_u32 v10, v52, 16, 1
	v_add3_u32 v10, v52, v10, s51
; %bb.111:                              ;   in Loop: Header=BB31_12 Depth=1
	s_andn2_saveexec_b64 s[40:41], s[18:19]
; %bb.112:                              ;   in Loop: Header=BB31_12 Depth=1
	v_or_b32_e32 v10, 0x10000, v52
	v_cmp_eq_u32_sdwa s[18:19], v52, v35 src0_sel:WORD_0 src1_sel:DWORD
	v_cndmask_b32_e64 v10, v10, v52, s[18:19]
; %bb.113:                              ;   in Loop: Header=BB31_12 Depth=1
	s_or_b64 exec, exec, s[40:41]
	v_add_u32_e32 v12, 3, v34
	v_mov_b32_e32 v13, v35
	v_lshlrev_b64 v[12:13], 1, v[12:13]
	v_mov_b32_e32 v11, s27
	v_add_co_u32_e64 v12, s[18:19], s26, v12
	v_addc_co_u32_e64 v13, s[18:19], v11, v13, s[18:19]
	global_store_short_d16_hi v[12:13], v10, off
	s_or_b64 exec, exec, s[38:39]
	s_and_saveexec_b64 s[38:39], s[12:13]
	s_cbranch_execz .LBB31_43
.LBB31_114:                             ;   in Loop: Header=BB31_12 Depth=1
	v_and_b32_e32 v10, 0x7f800000, v53
	v_cmp_ne_u32_e64 s[18:19], s50, v10
                                        ; implicit-def: $vgpr10
	s_and_saveexec_b64 s[40:41], s[18:19]
	s_xor_b64 s[18:19], exec, s[40:41]
; %bb.115:                              ;   in Loop: Header=BB31_12 Depth=1
	v_bfe_u32 v10, v53, 16, 1
	v_add3_u32 v10, v53, v10, s51
                                        ; implicit-def: $vgpr53
; %bb.116:                              ;   in Loop: Header=BB31_12 Depth=1
	s_andn2_saveexec_b64 s[40:41], s[18:19]
; %bb.117:                              ;   in Loop: Header=BB31_12 Depth=1
	v_or_b32_e32 v10, 0x10000, v53
	v_cmp_eq_u32_sdwa s[18:19], v53, v35 src0_sel:WORD_0 src1_sel:DWORD
	v_cndmask_b32_e64 v10, v10, v53, s[18:19]
; %bb.118:                              ;   in Loop: Header=BB31_12 Depth=1
	s_or_b64 exec, exec, s[40:41]
	v_add_u32_e32 v12, 4, v34
	v_mov_b32_e32 v13, v35
	v_lshlrev_b64 v[12:13], 1, v[12:13]
	v_mov_b32_e32 v11, s27
	v_add_co_u32_e64 v12, s[18:19], s26, v12
	v_addc_co_u32_e64 v13, s[18:19], v11, v13, s[18:19]
	global_store_short_d16_hi v[12:13], v10, off
	s_or_b64 exec, exec, s[38:39]
	s_and_saveexec_b64 s[38:39], s[14:15]
	s_cbranch_execz .LBB31_44
.LBB31_119:                             ;   in Loop: Header=BB31_12 Depth=1
	v_and_b32_e32 v10, 0x7f800000, v50
	v_cmp_ne_u32_e64 s[18:19], s50, v10
                                        ; implicit-def: $vgpr10
	s_and_saveexec_b64 s[40:41], s[18:19]
	s_xor_b64 s[18:19], exec, s[40:41]
; %bb.120:                              ;   in Loop: Header=BB31_12 Depth=1
	v_bfe_u32 v10, v50, 16, 1
	v_add3_u32 v10, v50, v10, s51
; %bb.121:                              ;   in Loop: Header=BB31_12 Depth=1
	s_andn2_saveexec_b64 s[40:41], s[18:19]
; %bb.122:                              ;   in Loop: Header=BB31_12 Depth=1
	v_or_b32_e32 v10, 0x10000, v50
	v_cmp_eq_u32_sdwa s[18:19], v50, v35 src0_sel:WORD_0 src1_sel:DWORD
	v_cndmask_b32_e64 v10, v10, v50, s[18:19]
; %bb.123:                              ;   in Loop: Header=BB31_12 Depth=1
	s_or_b64 exec, exec, s[40:41]
	v_add_u32_e32 v12, 5, v34
	v_mov_b32_e32 v13, v35
	v_lshlrev_b64 v[12:13], 1, v[12:13]
	v_mov_b32_e32 v11, s27
	v_add_co_u32_e64 v12, s[18:19], s26, v12
	v_addc_co_u32_e64 v13, s[18:19], v11, v13, s[18:19]
	global_store_short_d16_hi v[12:13], v10, off
	s_or_b64 exec, exec, s[38:39]
	s_and_saveexec_b64 s[38:39], s[16:17]
	s_cbranch_execz .LBB31_45
.LBB31_124:                             ;   in Loop: Header=BB31_12 Depth=1
	v_and_b32_e32 v10, 0x7f800000, v51
	v_cmp_ne_u32_e64 s[18:19], s50, v10
                                        ; implicit-def: $vgpr10
	s_and_saveexec_b64 s[40:41], s[18:19]
	s_xor_b64 s[18:19], exec, s[40:41]
; %bb.125:                              ;   in Loop: Header=BB31_12 Depth=1
	v_bfe_u32 v10, v51, 16, 1
	v_add3_u32 v10, v51, v10, s51
                                        ; implicit-def: $vgpr51
; %bb.126:                              ;   in Loop: Header=BB31_12 Depth=1
	s_andn2_saveexec_b64 s[40:41], s[18:19]
; %bb.127:                              ;   in Loop: Header=BB31_12 Depth=1
	v_or_b32_e32 v10, 0x10000, v51
	v_cmp_eq_u32_sdwa s[18:19], v51, v35 src0_sel:WORD_0 src1_sel:DWORD
	v_cndmask_b32_e64 v10, v10, v51, s[18:19]
; %bb.128:                              ;   in Loop: Header=BB31_12 Depth=1
	s_or_b64 exec, exec, s[40:41]
	v_add_u32_e32 v12, 6, v34
	v_mov_b32_e32 v13, v35
	v_lshlrev_b64 v[12:13], 1, v[12:13]
	v_mov_b32_e32 v11, s27
	v_add_co_u32_e64 v12, s[18:19], s26, v12
	v_addc_co_u32_e64 v13, s[18:19], v11, v13, s[18:19]
	global_store_short_d16_hi v[12:13], v10, off
	s_or_b64 exec, exec, s[38:39]
	v_add_u32_e32 v34, s25, v34
	s_and_saveexec_b64 s[38:39], vcc
	s_cbranch_execz .LBB31_46
.LBB31_129:                             ;   in Loop: Header=BB31_12 Depth=1
	v_and_b32_e32 v10, 0x7f800000, v48
	v_cmp_ne_u32_e64 s[18:19], s50, v10
                                        ; implicit-def: $vgpr10
	s_and_saveexec_b64 s[40:41], s[18:19]
	s_xor_b64 s[18:19], exec, s[40:41]
; %bb.130:                              ;   in Loop: Header=BB31_12 Depth=1
	v_bfe_u32 v10, v48, 16, 1
	v_add3_u32 v10, v48, v10, s51
; %bb.131:                              ;   in Loop: Header=BB31_12 Depth=1
	s_andn2_saveexec_b64 s[40:41], s[18:19]
; %bb.132:                              ;   in Loop: Header=BB31_12 Depth=1
	v_or_b32_e32 v10, 0x10000, v48
	v_cmp_eq_u32_sdwa s[18:19], v48, v35 src0_sel:WORD_0 src1_sel:DWORD
	v_cndmask_b32_e64 v10, v10, v48, s[18:19]
; %bb.133:                              ;   in Loop: Header=BB31_12 Depth=1
	s_or_b64 exec, exec, s[40:41]
	v_lshlrev_b64 v[12:13], 1, v[34:35]
	v_mov_b32_e32 v11, s27
	v_add_co_u32_e64 v12, s[18:19], s26, v12
	v_addc_co_u32_e64 v13, s[18:19], v11, v13, s[18:19]
	global_store_short_d16_hi v[12:13], v10, off
	s_or_b64 exec, exec, s[38:39]
	s_and_saveexec_b64 s[38:39], s[6:7]
	s_cbranch_execz .LBB31_47
.LBB31_134:                             ;   in Loop: Header=BB31_12 Depth=1
	v_and_b32_e32 v10, 0x7f800000, v49
	v_cmp_ne_u32_e64 s[18:19], s50, v10
                                        ; implicit-def: $vgpr10
	s_and_saveexec_b64 s[40:41], s[18:19]
	s_xor_b64 s[18:19], exec, s[40:41]
; %bb.135:                              ;   in Loop: Header=BB31_12 Depth=1
	v_bfe_u32 v10, v49, 16, 1
	v_add3_u32 v10, v49, v10, s51
                                        ; implicit-def: $vgpr49
; %bb.136:                              ;   in Loop: Header=BB31_12 Depth=1
	s_andn2_saveexec_b64 s[40:41], s[18:19]
; %bb.137:                              ;   in Loop: Header=BB31_12 Depth=1
	v_or_b32_e32 v10, 0x10000, v49
	v_cmp_eq_u32_sdwa s[18:19], v49, v35 src0_sel:WORD_0 src1_sel:DWORD
	v_cndmask_b32_e64 v10, v10, v49, s[18:19]
; %bb.138:                              ;   in Loop: Header=BB31_12 Depth=1
	s_or_b64 exec, exec, s[40:41]
	v_add_u32_e32 v12, 1, v34
	v_mov_b32_e32 v13, v35
	v_lshlrev_b64 v[12:13], 1, v[12:13]
	v_mov_b32_e32 v11, s27
	v_add_co_u32_e64 v12, s[18:19], s26, v12
	v_addc_co_u32_e64 v13, s[18:19], v11, v13, s[18:19]
	global_store_short_d16_hi v[12:13], v10, off
	s_or_b64 exec, exec, s[38:39]
	s_and_saveexec_b64 s[38:39], s[8:9]
	s_cbranch_execz .LBB31_48
.LBB31_139:                             ;   in Loop: Header=BB31_12 Depth=1
	v_and_b32_e32 v10, 0x7f800000, v46
	v_cmp_ne_u32_e64 s[18:19], s50, v10
                                        ; implicit-def: $vgpr10
	s_and_saveexec_b64 s[40:41], s[18:19]
	s_xor_b64 s[18:19], exec, s[40:41]
; %bb.140:                              ;   in Loop: Header=BB31_12 Depth=1
	v_bfe_u32 v10, v46, 16, 1
	v_add3_u32 v10, v46, v10, s51
; %bb.141:                              ;   in Loop: Header=BB31_12 Depth=1
	s_andn2_saveexec_b64 s[40:41], s[18:19]
; %bb.142:                              ;   in Loop: Header=BB31_12 Depth=1
	v_or_b32_e32 v10, 0x10000, v46
	v_cmp_eq_u32_sdwa s[18:19], v46, v35 src0_sel:WORD_0 src1_sel:DWORD
	v_cndmask_b32_e64 v10, v10, v46, s[18:19]
; %bb.143:                              ;   in Loop: Header=BB31_12 Depth=1
	s_or_b64 exec, exec, s[40:41]
	v_add_u32_e32 v12, 2, v34
	v_mov_b32_e32 v13, v35
	v_lshlrev_b64 v[12:13], 1, v[12:13]
	v_mov_b32_e32 v11, s27
	v_add_co_u32_e64 v12, s[18:19], s26, v12
	v_addc_co_u32_e64 v13, s[18:19], v11, v13, s[18:19]
	global_store_short_d16_hi v[12:13], v10, off
	s_or_b64 exec, exec, s[38:39]
	s_and_saveexec_b64 s[38:39], s[10:11]
	s_cbranch_execz .LBB31_49
.LBB31_144:                             ;   in Loop: Header=BB31_12 Depth=1
	v_and_b32_e32 v10, 0x7f800000, v47
	v_cmp_ne_u32_e64 s[18:19], s50, v10
                                        ; implicit-def: $vgpr10
	s_and_saveexec_b64 s[40:41], s[18:19]
	s_xor_b64 s[18:19], exec, s[40:41]
; %bb.145:                              ;   in Loop: Header=BB31_12 Depth=1
	v_bfe_u32 v10, v47, 16, 1
	v_add3_u32 v10, v47, v10, s51
                                        ; implicit-def: $vgpr47
; %bb.146:                              ;   in Loop: Header=BB31_12 Depth=1
	s_andn2_saveexec_b64 s[40:41], s[18:19]
; %bb.147:                              ;   in Loop: Header=BB31_12 Depth=1
	v_or_b32_e32 v10, 0x10000, v47
	v_cmp_eq_u32_sdwa s[18:19], v47, v35 src0_sel:WORD_0 src1_sel:DWORD
	v_cndmask_b32_e64 v10, v10, v47, s[18:19]
; %bb.148:                              ;   in Loop: Header=BB31_12 Depth=1
	s_or_b64 exec, exec, s[40:41]
	v_add_u32_e32 v12, 3, v34
	v_mov_b32_e32 v13, v35
	v_lshlrev_b64 v[12:13], 1, v[12:13]
	v_mov_b32_e32 v11, s27
	v_add_co_u32_e64 v12, s[18:19], s26, v12
	v_addc_co_u32_e64 v13, s[18:19], v11, v13, s[18:19]
	global_store_short_d16_hi v[12:13], v10, off
	s_or_b64 exec, exec, s[38:39]
	s_and_saveexec_b64 s[38:39], s[12:13]
	s_cbranch_execz .LBB31_50
.LBB31_149:                             ;   in Loop: Header=BB31_12 Depth=1
	v_and_b32_e32 v10, 0x7f800000, v44
	v_cmp_ne_u32_e64 s[18:19], s50, v10
                                        ; implicit-def: $vgpr10
	s_and_saveexec_b64 s[40:41], s[18:19]
	s_xor_b64 s[18:19], exec, s[40:41]
; %bb.150:                              ;   in Loop: Header=BB31_12 Depth=1
	v_bfe_u32 v10, v44, 16, 1
	v_add3_u32 v10, v44, v10, s51
; %bb.151:                              ;   in Loop: Header=BB31_12 Depth=1
	s_andn2_saveexec_b64 s[40:41], s[18:19]
; %bb.152:                              ;   in Loop: Header=BB31_12 Depth=1
	v_or_b32_e32 v10, 0x10000, v44
	v_cmp_eq_u32_sdwa s[18:19], v44, v35 src0_sel:WORD_0 src1_sel:DWORD
	v_cndmask_b32_e64 v10, v10, v44, s[18:19]
; %bb.153:                              ;   in Loop: Header=BB31_12 Depth=1
	s_or_b64 exec, exec, s[40:41]
	v_add_u32_e32 v12, 4, v34
	v_mov_b32_e32 v13, v35
	v_lshlrev_b64 v[12:13], 1, v[12:13]
	v_mov_b32_e32 v11, s27
	v_add_co_u32_e64 v12, s[18:19], s26, v12
	v_addc_co_u32_e64 v13, s[18:19], v11, v13, s[18:19]
	global_store_short_d16_hi v[12:13], v10, off
	s_or_b64 exec, exec, s[38:39]
	s_and_saveexec_b64 s[38:39], s[14:15]
	s_cbranch_execz .LBB31_51
.LBB31_154:                             ;   in Loop: Header=BB31_12 Depth=1
	v_and_b32_e32 v10, 0x7f800000, v45
	v_cmp_ne_u32_e64 s[18:19], s50, v10
                                        ; implicit-def: $vgpr10
	s_and_saveexec_b64 s[40:41], s[18:19]
	s_xor_b64 s[18:19], exec, s[40:41]
; %bb.155:                              ;   in Loop: Header=BB31_12 Depth=1
	v_bfe_u32 v10, v45, 16, 1
	v_add3_u32 v10, v45, v10, s51
                                        ; implicit-def: $vgpr45
; %bb.156:                              ;   in Loop: Header=BB31_12 Depth=1
	s_andn2_saveexec_b64 s[40:41], s[18:19]
; %bb.157:                              ;   in Loop: Header=BB31_12 Depth=1
	v_or_b32_e32 v10, 0x10000, v45
	v_cmp_eq_u32_sdwa s[18:19], v45, v35 src0_sel:WORD_0 src1_sel:DWORD
	v_cndmask_b32_e64 v10, v10, v45, s[18:19]
; %bb.158:                              ;   in Loop: Header=BB31_12 Depth=1
	s_or_b64 exec, exec, s[40:41]
	v_add_u32_e32 v12, 5, v34
	v_mov_b32_e32 v13, v35
	v_lshlrev_b64 v[12:13], 1, v[12:13]
	v_mov_b32_e32 v11, s27
	v_add_co_u32_e64 v12, s[18:19], s26, v12
	v_addc_co_u32_e64 v13, s[18:19], v11, v13, s[18:19]
	global_store_short_d16_hi v[12:13], v10, off
	s_or_b64 exec, exec, s[38:39]
	s_and_saveexec_b64 s[38:39], s[16:17]
	s_cbranch_execz .LBB31_52
.LBB31_159:                             ;   in Loop: Header=BB31_12 Depth=1
	v_and_b32_e32 v10, 0x7f800000, v42
	v_cmp_ne_u32_e64 s[18:19], s50, v10
                                        ; implicit-def: $vgpr10
	s_and_saveexec_b64 s[40:41], s[18:19]
	s_xor_b64 s[18:19], exec, s[40:41]
; %bb.160:                              ;   in Loop: Header=BB31_12 Depth=1
	v_bfe_u32 v10, v42, 16, 1
	v_add3_u32 v10, v42, v10, s51
; %bb.161:                              ;   in Loop: Header=BB31_12 Depth=1
	s_andn2_saveexec_b64 s[40:41], s[18:19]
; %bb.162:                              ;   in Loop: Header=BB31_12 Depth=1
	v_or_b32_e32 v10, 0x10000, v42
	v_cmp_eq_u32_sdwa s[18:19], v42, v35 src0_sel:WORD_0 src1_sel:DWORD
	v_cndmask_b32_e64 v10, v10, v42, s[18:19]
; %bb.163:                              ;   in Loop: Header=BB31_12 Depth=1
	s_or_b64 exec, exec, s[40:41]
	v_add_u32_e32 v12, 6, v34
	v_mov_b32_e32 v13, v35
	v_lshlrev_b64 v[12:13], 1, v[12:13]
	v_mov_b32_e32 v11, s27
	v_add_co_u32_e64 v12, s[18:19], s26, v12
	v_addc_co_u32_e64 v13, s[18:19], v11, v13, s[18:19]
	global_store_short_d16_hi v[12:13], v10, off
	s_or_b64 exec, exec, s[38:39]
	v_add_u32_e32 v34, s25, v34
	s_and_saveexec_b64 s[18:19], vcc
	s_cbranch_execz .LBB31_53
.LBB31_164:                             ;   in Loop: Header=BB31_12 Depth=1
	v_and_b32_e32 v10, 0x7f800000, v43
	v_cmp_ne_u32_e32 vcc, s50, v10
                                        ; implicit-def: $vgpr10
	s_and_saveexec_b64 s[38:39], vcc
	s_xor_b64 s[38:39], exec, s[38:39]
; %bb.165:                              ;   in Loop: Header=BB31_12 Depth=1
	v_bfe_u32 v10, v43, 16, 1
	v_add3_u32 v10, v43, v10, s51
                                        ; implicit-def: $vgpr43
; %bb.166:                              ;   in Loop: Header=BB31_12 Depth=1
	s_andn2_saveexec_b64 s[38:39], s[38:39]
; %bb.167:                              ;   in Loop: Header=BB31_12 Depth=1
	v_or_b32_e32 v10, 0x10000, v43
	v_cmp_eq_u32_sdwa vcc, v43, v35 src0_sel:WORD_0 src1_sel:DWORD
	v_cndmask_b32_e32 v10, v10, v43, vcc
; %bb.168:                              ;   in Loop: Header=BB31_12 Depth=1
	s_or_b64 exec, exec, s[38:39]
	v_lshlrev_b64 v[12:13], 1, v[34:35]
	v_mov_b32_e32 v11, s27
	v_add_co_u32_e32 v12, vcc, s26, v12
	v_addc_co_u32_e32 v13, vcc, v11, v13, vcc
	global_store_short_d16_hi v[12:13], v10, off
	s_or_b64 exec, exec, s[18:19]
	s_and_saveexec_b64 s[18:19], s[6:7]
	s_cbranch_execz .LBB31_54
.LBB31_169:                             ;   in Loop: Header=BB31_12 Depth=1
	v_and_b32_e32 v10, 0x7f800000, v40
	v_cmp_ne_u32_e32 vcc, s50, v10
                                        ; implicit-def: $vgpr10
	s_and_saveexec_b64 s[6:7], vcc
	s_xor_b64 s[6:7], exec, s[6:7]
; %bb.170:                              ;   in Loop: Header=BB31_12 Depth=1
	v_bfe_u32 v10, v40, 16, 1
	v_add3_u32 v10, v40, v10, s51
; %bb.171:                              ;   in Loop: Header=BB31_12 Depth=1
	s_andn2_saveexec_b64 s[6:7], s[6:7]
; %bb.172:                              ;   in Loop: Header=BB31_12 Depth=1
	v_or_b32_e32 v10, 0x10000, v40
	v_cmp_eq_u32_sdwa vcc, v40, v35 src0_sel:WORD_0 src1_sel:DWORD
	v_cndmask_b32_e32 v10, v10, v40, vcc
; %bb.173:                              ;   in Loop: Header=BB31_12 Depth=1
	s_or_b64 exec, exec, s[6:7]
	v_add_u32_e32 v12, 1, v34
	v_mov_b32_e32 v13, v35
	v_lshlrev_b64 v[12:13], 1, v[12:13]
	v_mov_b32_e32 v11, s27
	v_add_co_u32_e32 v12, vcc, s26, v12
	v_addc_co_u32_e32 v13, vcc, v11, v13, vcc
	global_store_short_d16_hi v[12:13], v10, off
	s_or_b64 exec, exec, s[18:19]
	s_and_saveexec_b64 s[6:7], s[8:9]
	s_cbranch_execz .LBB31_55
.LBB31_174:                             ;   in Loop: Header=BB31_12 Depth=1
	v_and_b32_e32 v10, 0x7f800000, v41
	v_cmp_ne_u32_e32 vcc, s50, v10
                                        ; implicit-def: $vgpr10
	s_and_saveexec_b64 s[8:9], vcc
	s_xor_b64 s[8:9], exec, s[8:9]
; %bb.175:                              ;   in Loop: Header=BB31_12 Depth=1
	v_bfe_u32 v10, v41, 16, 1
	v_add3_u32 v10, v41, v10, s51
                                        ; implicit-def: $vgpr41
; %bb.176:                              ;   in Loop: Header=BB31_12 Depth=1
	s_andn2_saveexec_b64 s[8:9], s[8:9]
; %bb.177:                              ;   in Loop: Header=BB31_12 Depth=1
	v_or_b32_e32 v10, 0x10000, v41
	v_cmp_eq_u32_sdwa vcc, v41, v35 src0_sel:WORD_0 src1_sel:DWORD
	v_cndmask_b32_e32 v10, v10, v41, vcc
; %bb.178:                              ;   in Loop: Header=BB31_12 Depth=1
	s_or_b64 exec, exec, s[8:9]
	v_add_u32_e32 v12, 2, v34
	v_mov_b32_e32 v13, v35
	v_lshlrev_b64 v[12:13], 1, v[12:13]
	v_mov_b32_e32 v11, s27
	v_add_co_u32_e32 v12, vcc, s26, v12
	v_addc_co_u32_e32 v13, vcc, v11, v13, vcc
	global_store_short_d16_hi v[12:13], v10, off
	s_or_b64 exec, exec, s[6:7]
	s_and_saveexec_b64 s[6:7], s[10:11]
	s_cbranch_execz .LBB31_56
.LBB31_179:                             ;   in Loop: Header=BB31_12 Depth=1
	v_and_b32_e32 v10, 0x7f800000, v38
	v_cmp_ne_u32_e32 vcc, s50, v10
                                        ; implicit-def: $vgpr10
	s_and_saveexec_b64 s[8:9], vcc
	s_xor_b64 s[8:9], exec, s[8:9]
; %bb.180:                              ;   in Loop: Header=BB31_12 Depth=1
	v_bfe_u32 v10, v38, 16, 1
	v_add3_u32 v10, v38, v10, s51
; %bb.181:                              ;   in Loop: Header=BB31_12 Depth=1
	s_andn2_saveexec_b64 s[8:9], s[8:9]
; %bb.182:                              ;   in Loop: Header=BB31_12 Depth=1
	v_or_b32_e32 v10, 0x10000, v38
	v_cmp_eq_u32_sdwa vcc, v38, v35 src0_sel:WORD_0 src1_sel:DWORD
	v_cndmask_b32_e32 v10, v10, v38, vcc
; %bb.183:                              ;   in Loop: Header=BB31_12 Depth=1
	s_or_b64 exec, exec, s[8:9]
	v_add_u32_e32 v12, 3, v34
	v_mov_b32_e32 v13, v35
	v_lshlrev_b64 v[12:13], 1, v[12:13]
	v_mov_b32_e32 v11, s27
	v_add_co_u32_e32 v12, vcc, s26, v12
	v_addc_co_u32_e32 v13, vcc, v11, v13, vcc
	global_store_short_d16_hi v[12:13], v10, off
	s_or_b64 exec, exec, s[6:7]
	s_and_saveexec_b64 s[6:7], s[12:13]
	s_cbranch_execz .LBB31_57
.LBB31_184:                             ;   in Loop: Header=BB31_12 Depth=1
	v_and_b32_e32 v10, 0x7f800000, v39
	v_cmp_ne_u32_e32 vcc, s50, v10
                                        ; implicit-def: $vgpr10
	s_and_saveexec_b64 s[8:9], vcc
	s_xor_b64 s[8:9], exec, s[8:9]
; %bb.185:                              ;   in Loop: Header=BB31_12 Depth=1
	v_bfe_u32 v10, v39, 16, 1
	v_add3_u32 v10, v39, v10, s51
                                        ; implicit-def: $vgpr39
; %bb.186:                              ;   in Loop: Header=BB31_12 Depth=1
	s_andn2_saveexec_b64 s[8:9], s[8:9]
; %bb.187:                              ;   in Loop: Header=BB31_12 Depth=1
	v_or_b32_e32 v10, 0x10000, v39
	v_cmp_eq_u32_sdwa vcc, v39, v35 src0_sel:WORD_0 src1_sel:DWORD
	v_cndmask_b32_e32 v10, v10, v39, vcc
; %bb.188:                              ;   in Loop: Header=BB31_12 Depth=1
	s_or_b64 exec, exec, s[8:9]
	v_add_u32_e32 v12, 4, v34
	v_mov_b32_e32 v13, v35
	v_lshlrev_b64 v[12:13], 1, v[12:13]
	v_mov_b32_e32 v11, s27
	v_add_co_u32_e32 v12, vcc, s26, v12
	v_addc_co_u32_e32 v13, vcc, v11, v13, vcc
	global_store_short_d16_hi v[12:13], v10, off
	s_or_b64 exec, exec, s[6:7]
	s_and_saveexec_b64 s[6:7], s[14:15]
	s_cbranch_execz .LBB31_58
.LBB31_189:                             ;   in Loop: Header=BB31_12 Depth=1
	v_and_b32_e32 v10, 0x7f800000, v36
	v_cmp_ne_u32_e32 vcc, s50, v10
                                        ; implicit-def: $vgpr10
	s_and_saveexec_b64 s[8:9], vcc
	s_xor_b64 s[8:9], exec, s[8:9]
; %bb.190:                              ;   in Loop: Header=BB31_12 Depth=1
	v_bfe_u32 v10, v36, 16, 1
	v_add3_u32 v10, v36, v10, s51
; %bb.191:                              ;   in Loop: Header=BB31_12 Depth=1
	s_andn2_saveexec_b64 s[8:9], s[8:9]
; %bb.192:                              ;   in Loop: Header=BB31_12 Depth=1
	v_or_b32_e32 v10, 0x10000, v36
	v_cmp_eq_u32_sdwa vcc, v36, v35 src0_sel:WORD_0 src1_sel:DWORD
	v_cndmask_b32_e32 v10, v10, v36, vcc
; %bb.193:                              ;   in Loop: Header=BB31_12 Depth=1
	s_or_b64 exec, exec, s[8:9]
	v_add_u32_e32 v12, 5, v34
	v_mov_b32_e32 v13, v35
	v_lshlrev_b64 v[12:13], 1, v[12:13]
	v_mov_b32_e32 v11, s27
	v_add_co_u32_e32 v12, vcc, s26, v12
	v_addc_co_u32_e32 v13, vcc, v11, v13, vcc
	global_store_short_d16_hi v[12:13], v10, off
	s_or_b64 exec, exec, s[6:7]
	s_and_b64 exec, exec, s[16:17]
	s_cbranch_execz .LBB31_199
.LBB31_194:                             ;   in Loop: Header=BB31_12 Depth=1
	v_and_b32_e32 v10, 0x7f800000, v37
	v_cmp_ne_u32_e32 vcc, s50, v10
                                        ; implicit-def: $vgpr10
	s_and_saveexec_b64 s[6:7], vcc
	s_xor_b64 s[6:7], exec, s[6:7]
; %bb.195:                              ;   in Loop: Header=BB31_12 Depth=1
	v_bfe_u32 v10, v37, 16, 1
	v_add3_u32 v10, v37, v10, s51
                                        ; implicit-def: $vgpr37
; %bb.196:                              ;   in Loop: Header=BB31_12 Depth=1
	s_andn2_saveexec_b64 s[6:7], s[6:7]
; %bb.197:                              ;   in Loop: Header=BB31_12 Depth=1
	v_or_b32_e32 v10, 0x10000, v37
	v_cmp_eq_u32_sdwa vcc, v37, v35 src0_sel:WORD_0 src1_sel:DWORD
	v_cndmask_b32_e32 v10, v10, v37, vcc
; %bb.198:                              ;   in Loop: Header=BB31_12 Depth=1
	s_or_b64 exec, exec, s[6:7]
	v_add_u32_e32 v34, 6, v34
	v_lshlrev_b64 v[12:13], 1, v[34:35]
	v_mov_b32_e32 v11, s27
	v_add_co_u32_e32 v12, vcc, s26, v12
	v_addc_co_u32_e32 v13, vcc, v11, v13, vcc
	global_store_short_d16_hi v[12:13], v10, off
.LBB31_199:                             ;   in Loop: Header=BB31_12 Depth=1
	s_or_b64 exec, exec, s[36:37]
	v_add_u32_e32 v30, s44, v30
	v_add_u32_e32 v10, 7, v30
	v_cmp_gt_u32_e32 vcc, s25, v30
	v_cmp_le_u32_e64 s[6:7], s25, v10
	s_and_b64 s[6:7], vcc, s[6:7]
	s_and_saveexec_b64 s[8:9], s[6:7]
	s_cbranch_execz .LBB31_10
; %bb.200:                              ;   in Loop: Header=BB31_12 Depth=1
	v_cmp_ne_u32_e32 vcc, s45, v30
	s_and_saveexec_b64 s[10:11], vcc
	s_cbranch_execz .LBB31_9
; %bb.201:                              ;   in Loop: Header=BB31_12 Depth=1
	v_subrev_u32_e32 v10, s45, v30
	v_cmp_lt_u32_e32 vcc, 1, v10
	v_cndmask_b32_e32 v10, 1, v10, vcc
	s_mov_b64 s[12:13], 0
	s_mov_b64 s[14:15], 0
.LBB31_202:                             ;   Parent Loop BB31_12 Depth=1
                                        ; =>  This Inner Loop Header: Depth=2
	s_cmp_lg_u32 s14, 6
	s_cselect_b64 vcc, -1, 0
	s_cmp_lg_u32 s14, 5
	v_cndmask_b32_e32 v8, 0, v8, vcc
	s_cselect_b64 vcc, -1, 0
	s_cmp_lg_u32 s14, 4
	v_cndmask_b32_e32 v7, 0, v7, vcc
	s_cselect_b64 vcc, -1, 0
	s_cmp_lg_u32 s14, 3
	v_cndmask_b32_e32 v6, 0, v6, vcc
	s_cselect_b64 vcc, -1, 0
	s_cmp_lg_u32 s14, 2
	v_cndmask_b32_e32 v5, 0, v5, vcc
	s_cselect_b64 vcc, -1, 0
	s_cmp_lg_u32 s14, 1
	v_cndmask_b32_e32 v4, 0, v4, vcc
	s_cselect_b64 vcc, -1, 0
	s_cmp_lg_u32 s14, 0
	v_cndmask_b32_e32 v3, 0, v3, vcc
	s_cselect_b64 vcc, -1, 0
	s_add_u32 s14, s14, 1
	s_addc_u32 s15, s15, 0
	v_cmp_eq_u32_e64 s[6:7], s14, v10
	s_or_b64 s[12:13], s[6:7], s[12:13]
	v_cndmask_b32_e32 v2, 0, v2, vcc
	s_andn2_b64 exec, exec, s[12:13]
	s_cbranch_execnz .LBB31_202
; %bb.203:                              ;   in Loop: Header=BB31_12 Depth=1
	s_or_b64 exec, exec, s[12:13]
	s_branch .LBB31_9
.LBB31_204:
	s_endpgm
	.section	.rodata,"a",@progbits
	.p2align	6, 0x0
	.amdhsa_kernel _Z16wvSplitK_hf_big_I14__hip_bfloat16Li64ELi7ELi16ELi8ELi1ELi4EEviiPKT_S3_PS1_ii
		.amdhsa_group_segment_fixed_size 65536
		.amdhsa_private_segment_fixed_size 28
		.amdhsa_kernarg_size 40
		.amdhsa_user_sgpr_count 6
		.amdhsa_user_sgpr_private_segment_buffer 1
		.amdhsa_user_sgpr_dispatch_ptr 0
		.amdhsa_user_sgpr_queue_ptr 0
		.amdhsa_user_sgpr_kernarg_segment_ptr 1
		.amdhsa_user_sgpr_dispatch_id 0
		.amdhsa_user_sgpr_flat_scratch_init 0
		.amdhsa_user_sgpr_kernarg_preload_length 0
		.amdhsa_user_sgpr_kernarg_preload_offset 0
		.amdhsa_user_sgpr_private_segment_size 0
		.amdhsa_uses_dynamic_stack 0
		.amdhsa_system_sgpr_private_segment_wavefront_offset 1
		.amdhsa_system_sgpr_workgroup_id_x 1
		.amdhsa_system_sgpr_workgroup_id_y 0
		.amdhsa_system_sgpr_workgroup_id_z 0
		.amdhsa_system_sgpr_workgroup_info 0
		.amdhsa_system_vgpr_workitem_id 1
		.amdhsa_next_free_vgpr 128
		.amdhsa_next_free_sgpr 56
		.amdhsa_accum_offset 128
		.amdhsa_reserve_vcc 1
		.amdhsa_reserve_flat_scratch 0
		.amdhsa_float_round_mode_32 0
		.amdhsa_float_round_mode_16_64 0
		.amdhsa_float_denorm_mode_32 3
		.amdhsa_float_denorm_mode_16_64 3
		.amdhsa_dx10_clamp 1
		.amdhsa_ieee_mode 1
		.amdhsa_fp16_overflow 0
		.amdhsa_tg_split 0
		.amdhsa_exception_fp_ieee_invalid_op 0
		.amdhsa_exception_fp_denorm_src 0
		.amdhsa_exception_fp_ieee_div_zero 0
		.amdhsa_exception_fp_ieee_overflow 0
		.amdhsa_exception_fp_ieee_underflow 0
		.amdhsa_exception_fp_ieee_inexact 0
		.amdhsa_exception_int_div_zero 0
	.end_amdhsa_kernel
	.section	.text._Z16wvSplitK_hf_big_I14__hip_bfloat16Li64ELi7ELi16ELi8ELi1ELi4EEviiPKT_S3_PS1_ii,"axG",@progbits,_Z16wvSplitK_hf_big_I14__hip_bfloat16Li64ELi7ELi16ELi8ELi1ELi4EEviiPKT_S3_PS1_ii,comdat
.Lfunc_end31:
	.size	_Z16wvSplitK_hf_big_I14__hip_bfloat16Li64ELi7ELi16ELi8ELi1ELi4EEviiPKT_S3_PS1_ii, .Lfunc_end31-_Z16wvSplitK_hf_big_I14__hip_bfloat16Li64ELi7ELi16ELi8ELi1ELi4EEviiPKT_S3_PS1_ii
                                        ; -- End function
	.section	.AMDGPU.csdata,"",@progbits
; Kernel info:
; codeLenInByte = 11584
; NumSgprs: 60
; NumVgprs: 128
; NumAgprs: 0
; TotalNumVgprs: 128
; ScratchSize: 28
; MemoryBound: 0
; FloatMode: 240
; IeeeMode: 1
; LDSByteSize: 65536 bytes/workgroup (compile time only)
; SGPRBlocks: 7
; VGPRBlocks: 15
; NumSGPRsForWavesPerEU: 60
; NumVGPRsForWavesPerEU: 128
; AccumOffset: 128
; Occupancy: 4
; WaveLimiterHint : 0
; COMPUTE_PGM_RSRC2:SCRATCH_EN: 1
; COMPUTE_PGM_RSRC2:USER_SGPR: 6
; COMPUTE_PGM_RSRC2:TRAP_HANDLER: 0
; COMPUTE_PGM_RSRC2:TGID_X_EN: 1
; COMPUTE_PGM_RSRC2:TGID_Y_EN: 0
; COMPUTE_PGM_RSRC2:TGID_Z_EN: 0
; COMPUTE_PGM_RSRC2:TIDIG_COMP_CNT: 1
; COMPUTE_PGM_RSRC3_GFX90A:ACCUM_OFFSET: 31
; COMPUTE_PGM_RSRC3_GFX90A:TG_SPLIT: 0
	.text
	.p2align	2                               ; -- Begin function __ockl_fprintf_append_string_n
	.type	__ockl_fprintf_append_string_n,@function
__ockl_fprintf_append_string_n:         ; @__ockl_fprintf_append_string_n
; %bb.0:
	s_waitcnt vmcnt(0) expcnt(0) lgkmcnt(0)
	v_mov_b32_e32 v9, v3
	v_mov_b32_e32 v8, v2
	v_or_b32_e32 v2, 2, v0
	v_cmp_eq_u32_e32 vcc, 0, v6
	s_mov_b32 s22, 0
	v_cndmask_b32_e32 v0, v2, v0, vcc
	s_mov_b64 s[6:7], 0
	v_cmp_ne_u64_e32 vcc, 0, v[8:9]
	v_mbcnt_lo_u32_b32 v2, -1, 0
	s_and_saveexec_b64 s[4:5], vcc
	s_xor_b64 s[10:11], exec, s[4:5]
	s_cbranch_execz .LBB32_86
; %bb.1:
	s_load_dwordx2 s[12:13], s[8:9], 0x50
	v_and_b32_e32 v6, 2, v0
	v_mov_b32_e32 v31, 0
	v_and_b32_e32 v0, -3, v0
	v_mbcnt_hi_u32_b32 v32, -1, v2
	s_movk_i32 s23, 0xff1f
	v_mov_b32_e32 v12, 2
	v_mov_b32_e32 v13, 1
	s_branch .LBB32_3
.LBB32_2:                               ;   in Loop: Header=BB32_3 Depth=1
	s_or_b64 exec, exec, s[16:17]
	v_sub_co_u32_e32 v4, vcc, v4, v34
	v_subb_co_u32_e32 v5, vcc, v5, v35, vcc
	v_cmp_eq_u64_e32 vcc, 0, v[4:5]
	s_or_b64 s[6:7], vcc, s[6:7]
	v_add_co_u32_e32 v8, vcc, v8, v34
	v_addc_co_u32_e32 v9, vcc, v9, v35, vcc
	s_andn2_b64 exec, exec, s[6:7]
	s_cbranch_execz .LBB32_85
.LBB32_3:                               ; =>This Loop Header: Depth=1
                                        ;     Child Loop BB32_6 Depth 2
                                        ;     Child Loop BB32_14 Depth 2
	;; [unrolled: 1-line block ×11, first 2 shown]
	v_cmp_gt_u64_e32 vcc, 56, v[4:5]
	v_cndmask_b32_e32 v35, 0, v5, vcc
	v_cndmask_b32_e32 v34, 56, v4, vcc
	v_cmp_gt_u64_e32 vcc, 8, v[4:5]
                                        ; implicit-def: $vgpr2_vgpr3
                                        ; implicit-def: $sgpr14
	s_and_saveexec_b64 s[4:5], vcc
	s_xor_b64 s[4:5], exec, s[4:5]
	s_cbranch_execz .LBB32_9
; %bb.4:                                ;   in Loop: Header=BB32_3 Depth=1
	s_mov_b64 s[16:17], 0
	v_cmp_ne_u64_e32 vcc, 0, v[4:5]
	s_waitcnt vmcnt(0)
	v_pk_mov_b32 v[2:3], 0, 0
	s_and_saveexec_b64 s[14:15], vcc
	s_cbranch_execz .LBB32_8
; %bb.5:                                ;   in Loop: Header=BB32_3 Depth=1
	v_lshlrev_b64 v[10:11], 3, v[34:35]
	v_pk_mov_b32 v[2:3], 0, 0
	v_pk_mov_b32 v[14:15], v[8:9], v[8:9] op_sel:[0,1]
	s_mov_b64 s[18:19], 0
.LBB32_6:                               ;   Parent Loop BB32_3 Depth=1
                                        ; =>  This Inner Loop Header: Depth=2
	flat_load_ubyte v7, v[14:15]
	v_mov_b32_e32 v17, s22
	v_add_co_u32_e32 v14, vcc, 1, v14
	v_addc_co_u32_e32 v15, vcc, 0, v15, vcc
	s_waitcnt vmcnt(0) lgkmcnt(0)
	v_and_b32_e32 v16, 0xffff, v7
	v_lshlrev_b64 v[16:17], s18, v[16:17]
	s_add_u32 s18, s18, 8
	s_addc_u32 s19, s19, 0
	v_cmp_eq_u32_e32 vcc, s18, v10
	v_or_b32_e32 v3, v17, v3
	s_or_b64 s[16:17], vcc, s[16:17]
	v_or_b32_e32 v2, v16, v2
	s_andn2_b64 exec, exec, s[16:17]
	s_cbranch_execnz .LBB32_6
; %bb.7:                                ;   in Loop: Header=BB32_3 Depth=1
	s_or_b64 exec, exec, s[16:17]
.LBB32_8:                               ;   in Loop: Header=BB32_3 Depth=1
	s_or_b64 exec, exec, s[14:15]
	s_mov_b32 s14, 0
.LBB32_9:                               ;   in Loop: Header=BB32_3 Depth=1
	s_or_saveexec_b64 s[4:5], s[4:5]
	v_mov_b32_e32 v7, s14
	v_pk_mov_b32 v[10:11], v[8:9], v[8:9] op_sel:[0,1]
	s_xor_b64 exec, exec, s[4:5]
	s_cbranch_execz .LBB32_11
; %bb.10:                               ;   in Loop: Header=BB32_3 Depth=1
	s_waitcnt vmcnt(0)
	flat_load_dwordx2 v[2:3], v[8:9]
	v_add_u32_e32 v7, -8, v34
	s_waitcnt vmcnt(0) lgkmcnt(0)
	v_and_b32_e32 v10, 0xff, v3
	v_and_b32_e32 v11, 0xff00, v3
	;; [unrolled: 1-line block ×4, first 2 shown]
	v_or_b32_e32 v10, v10, v11
	v_or3_b32 v3, v10, v14, v3
	v_add_co_u32_e32 v10, vcc, 8, v8
	v_or3_b32 v2, v2, 0, 0
	v_addc_co_u32_e32 v11, vcc, 0, v9, vcc
.LBB32_11:                              ;   in Loop: Header=BB32_3 Depth=1
	s_or_b64 exec, exec, s[4:5]
	v_cmp_gt_u32_e32 vcc, 8, v7
                                        ; implicit-def: $vgpr14_vgpr15
                                        ; implicit-def: $sgpr14
	s_and_saveexec_b64 s[4:5], vcc
	s_xor_b64 s[4:5], exec, s[4:5]
	s_cbranch_execz .LBB32_17
; %bb.12:                               ;   in Loop: Header=BB32_3 Depth=1
	v_cmp_ne_u32_e32 vcc, 0, v7
	v_pk_mov_b32 v[14:15], 0, 0
	s_and_saveexec_b64 s[14:15], vcc
	s_cbranch_execz .LBB32_16
; %bb.13:                               ;   in Loop: Header=BB32_3 Depth=1
	s_mov_b64 s[16:17], 0
	v_pk_mov_b32 v[14:15], 0, 0
	s_mov_b64 s[18:19], 0
	s_mov_b64 s[20:21], 0
.LBB32_14:                              ;   Parent Loop BB32_3 Depth=1
                                        ; =>  This Inner Loop Header: Depth=2
	v_mov_b32_e32 v17, s21
	v_add_co_u32_e32 v16, vcc, s20, v10
	v_addc_co_u32_e32 v17, vcc, v11, v17, vcc
	flat_load_ubyte v16, v[16:17]
	s_add_u32 s20, s20, 1
	v_mov_b32_e32 v17, s22
	s_addc_u32 s21, s21, 0
	v_cmp_eq_u32_e32 vcc, s20, v7
	s_waitcnt vmcnt(0) lgkmcnt(0)
	v_and_b32_e32 v16, 0xffff, v16
	v_lshlrev_b64 v[16:17], s18, v[16:17]
	s_add_u32 s18, s18, 8
	s_addc_u32 s19, s19, 0
	v_or_b32_e32 v15, v17, v15
	s_or_b64 s[16:17], vcc, s[16:17]
	v_or_b32_e32 v14, v16, v14
	s_andn2_b64 exec, exec, s[16:17]
	s_cbranch_execnz .LBB32_14
; %bb.15:                               ;   in Loop: Header=BB32_3 Depth=1
	s_or_b64 exec, exec, s[16:17]
.LBB32_16:                              ;   in Loop: Header=BB32_3 Depth=1
	s_or_b64 exec, exec, s[14:15]
	s_mov_b32 s14, 0
                                        ; implicit-def: $vgpr7
.LBB32_17:                              ;   in Loop: Header=BB32_3 Depth=1
	s_or_saveexec_b64 s[4:5], s[4:5]
	v_mov_b32_e32 v18, s14
	s_xor_b64 exec, exec, s[4:5]
	s_cbranch_execz .LBB32_19
; %bb.18:                               ;   in Loop: Header=BB32_3 Depth=1
	flat_load_dwordx2 v[14:15], v[10:11]
	v_add_u32_e32 v18, -8, v7
	v_add_co_u32_e32 v10, vcc, 8, v10
	v_addc_co_u32_e32 v11, vcc, 0, v11, vcc
	s_waitcnt vmcnt(0) lgkmcnt(0)
	v_and_b32_e32 v7, 0xff, v15
	v_and_b32_e32 v16, 0xff00, v15
	;; [unrolled: 1-line block ×4, first 2 shown]
	v_or_b32_e32 v7, v7, v16
	v_or3_b32 v14, v14, 0, 0
	v_or3_b32 v15, v7, v17, v15
.LBB32_19:                              ;   in Loop: Header=BB32_3 Depth=1
	s_or_b64 exec, exec, s[4:5]
	v_cmp_gt_u32_e32 vcc, 8, v18
                                        ; implicit-def: $sgpr14
	s_and_saveexec_b64 s[4:5], vcc
	s_xor_b64 s[4:5], exec, s[4:5]
	s_cbranch_execz .LBB32_25
; %bb.20:                               ;   in Loop: Header=BB32_3 Depth=1
	v_cmp_ne_u32_e32 vcc, 0, v18
	v_pk_mov_b32 v[16:17], 0, 0
	s_and_saveexec_b64 s[14:15], vcc
	s_cbranch_execz .LBB32_24
; %bb.21:                               ;   in Loop: Header=BB32_3 Depth=1
	s_mov_b64 s[16:17], 0
	v_pk_mov_b32 v[16:17], 0, 0
	s_mov_b64 s[18:19], 0
	s_mov_b64 s[20:21], 0
.LBB32_22:                              ;   Parent Loop BB32_3 Depth=1
                                        ; =>  This Inner Loop Header: Depth=2
	v_mov_b32_e32 v7, s21
	v_add_co_u32_e32 v20, vcc, s20, v10
	v_addc_co_u32_e32 v21, vcc, v11, v7, vcc
	flat_load_ubyte v7, v[20:21]
	s_add_u32 s20, s20, 1
	v_mov_b32_e32 v21, s22
	s_addc_u32 s21, s21, 0
	v_cmp_eq_u32_e32 vcc, s20, v18
	s_waitcnt vmcnt(0) lgkmcnt(0)
	v_and_b32_e32 v20, 0xffff, v7
	v_lshlrev_b64 v[20:21], s18, v[20:21]
	s_add_u32 s18, s18, 8
	s_addc_u32 s19, s19, 0
	v_or_b32_e32 v17, v21, v17
	s_or_b64 s[16:17], vcc, s[16:17]
	v_or_b32_e32 v16, v20, v16
	s_andn2_b64 exec, exec, s[16:17]
	s_cbranch_execnz .LBB32_22
; %bb.23:                               ;   in Loop: Header=BB32_3 Depth=1
	s_or_b64 exec, exec, s[16:17]
.LBB32_24:                              ;   in Loop: Header=BB32_3 Depth=1
	s_or_b64 exec, exec, s[14:15]
	s_mov_b32 s14, 0
                                        ; implicit-def: $vgpr18
.LBB32_25:                              ;   in Loop: Header=BB32_3 Depth=1
	s_or_saveexec_b64 s[4:5], s[4:5]
	v_mov_b32_e32 v7, s14
	s_xor_b64 exec, exec, s[4:5]
	s_cbranch_execz .LBB32_27
; %bb.26:                               ;   in Loop: Header=BB32_3 Depth=1
	flat_load_dwordx2 v[16:17], v[10:11]
	v_add_u32_e32 v7, -8, v18
	v_add_co_u32_e32 v10, vcc, 8, v10
	v_addc_co_u32_e32 v11, vcc, 0, v11, vcc
	s_waitcnt vmcnt(0) lgkmcnt(0)
	v_and_b32_e32 v18, 0xff, v17
	v_and_b32_e32 v19, 0xff00, v17
	;; [unrolled: 1-line block ×4, first 2 shown]
	v_or_b32_e32 v18, v18, v19
	v_or3_b32 v16, v16, 0, 0
	v_or3_b32 v17, v18, v20, v17
.LBB32_27:                              ;   in Loop: Header=BB32_3 Depth=1
	s_or_b64 exec, exec, s[4:5]
	v_cmp_gt_u32_e32 vcc, 8, v7
                                        ; implicit-def: $vgpr18_vgpr19
                                        ; implicit-def: $sgpr14
	s_and_saveexec_b64 s[4:5], vcc
	s_xor_b64 s[4:5], exec, s[4:5]
	s_cbranch_execz .LBB32_33
; %bb.28:                               ;   in Loop: Header=BB32_3 Depth=1
	v_cmp_ne_u32_e32 vcc, 0, v7
	v_pk_mov_b32 v[18:19], 0, 0
	s_and_saveexec_b64 s[14:15], vcc
	s_cbranch_execz .LBB32_32
; %bb.29:                               ;   in Loop: Header=BB32_3 Depth=1
	s_mov_b64 s[16:17], 0
	v_pk_mov_b32 v[18:19], 0, 0
	s_mov_b64 s[18:19], 0
	s_mov_b64 s[20:21], 0
.LBB32_30:                              ;   Parent Loop BB32_3 Depth=1
                                        ; =>  This Inner Loop Header: Depth=2
	v_mov_b32_e32 v21, s21
	v_add_co_u32_e32 v20, vcc, s20, v10
	v_addc_co_u32_e32 v21, vcc, v11, v21, vcc
	flat_load_ubyte v20, v[20:21]
	s_add_u32 s20, s20, 1
	v_mov_b32_e32 v21, s22
	s_addc_u32 s21, s21, 0
	v_cmp_eq_u32_e32 vcc, s20, v7
	s_waitcnt vmcnt(0) lgkmcnt(0)
	v_and_b32_e32 v20, 0xffff, v20
	v_lshlrev_b64 v[20:21], s18, v[20:21]
	s_add_u32 s18, s18, 8
	s_addc_u32 s19, s19, 0
	v_or_b32_e32 v19, v21, v19
	s_or_b64 s[16:17], vcc, s[16:17]
	v_or_b32_e32 v18, v20, v18
	s_andn2_b64 exec, exec, s[16:17]
	s_cbranch_execnz .LBB32_30
; %bb.31:                               ;   in Loop: Header=BB32_3 Depth=1
	s_or_b64 exec, exec, s[16:17]
.LBB32_32:                              ;   in Loop: Header=BB32_3 Depth=1
	s_or_b64 exec, exec, s[14:15]
	s_mov_b32 s14, 0
                                        ; implicit-def: $vgpr7
.LBB32_33:                              ;   in Loop: Header=BB32_3 Depth=1
	s_or_saveexec_b64 s[4:5], s[4:5]
	v_mov_b32_e32 v22, s14
	s_xor_b64 exec, exec, s[4:5]
	s_cbranch_execz .LBB32_35
; %bb.34:                               ;   in Loop: Header=BB32_3 Depth=1
	flat_load_dwordx2 v[18:19], v[10:11]
	v_add_u32_e32 v22, -8, v7
	v_add_co_u32_e32 v10, vcc, 8, v10
	v_addc_co_u32_e32 v11, vcc, 0, v11, vcc
	s_waitcnt vmcnt(0) lgkmcnt(0)
	v_and_b32_e32 v7, 0xff, v19
	v_and_b32_e32 v20, 0xff00, v19
	;; [unrolled: 1-line block ×4, first 2 shown]
	v_or_b32_e32 v7, v7, v20
	v_or3_b32 v18, v18, 0, 0
	v_or3_b32 v19, v7, v21, v19
.LBB32_35:                              ;   in Loop: Header=BB32_3 Depth=1
	s_or_b64 exec, exec, s[4:5]
	v_cmp_gt_u32_e32 vcc, 8, v22
                                        ; implicit-def: $sgpr14
	s_and_saveexec_b64 s[4:5], vcc
	s_xor_b64 s[4:5], exec, s[4:5]
	s_cbranch_execz .LBB32_41
; %bb.36:                               ;   in Loop: Header=BB32_3 Depth=1
	v_cmp_ne_u32_e32 vcc, 0, v22
	v_pk_mov_b32 v[20:21], 0, 0
	s_and_saveexec_b64 s[14:15], vcc
	s_cbranch_execz .LBB32_40
; %bb.37:                               ;   in Loop: Header=BB32_3 Depth=1
	s_mov_b64 s[16:17], 0
	v_pk_mov_b32 v[20:21], 0, 0
	s_mov_b64 s[18:19], 0
	s_mov_b64 s[20:21], 0
.LBB32_38:                              ;   Parent Loop BB32_3 Depth=1
                                        ; =>  This Inner Loop Header: Depth=2
	v_mov_b32_e32 v7, s21
	v_add_co_u32_e32 v24, vcc, s20, v10
	v_addc_co_u32_e32 v25, vcc, v11, v7, vcc
	flat_load_ubyte v7, v[24:25]
	s_add_u32 s20, s20, 1
	v_mov_b32_e32 v25, s22
	s_addc_u32 s21, s21, 0
	v_cmp_eq_u32_e32 vcc, s20, v22
	s_waitcnt vmcnt(0) lgkmcnt(0)
	v_and_b32_e32 v24, 0xffff, v7
	v_lshlrev_b64 v[24:25], s18, v[24:25]
	s_add_u32 s18, s18, 8
	s_addc_u32 s19, s19, 0
	v_or_b32_e32 v21, v25, v21
	s_or_b64 s[16:17], vcc, s[16:17]
	v_or_b32_e32 v20, v24, v20
	s_andn2_b64 exec, exec, s[16:17]
	s_cbranch_execnz .LBB32_38
; %bb.39:                               ;   in Loop: Header=BB32_3 Depth=1
	s_or_b64 exec, exec, s[16:17]
.LBB32_40:                              ;   in Loop: Header=BB32_3 Depth=1
	s_or_b64 exec, exec, s[14:15]
	s_mov_b32 s14, 0
                                        ; implicit-def: $vgpr22
.LBB32_41:                              ;   in Loop: Header=BB32_3 Depth=1
	s_or_saveexec_b64 s[4:5], s[4:5]
	v_mov_b32_e32 v7, s14
	s_xor_b64 exec, exec, s[4:5]
	s_cbranch_execz .LBB32_43
; %bb.42:                               ;   in Loop: Header=BB32_3 Depth=1
	flat_load_dwordx2 v[20:21], v[10:11]
	v_add_u32_e32 v7, -8, v22
	v_add_co_u32_e32 v10, vcc, 8, v10
	v_addc_co_u32_e32 v11, vcc, 0, v11, vcc
	s_waitcnt vmcnt(0) lgkmcnt(0)
	v_and_b32_e32 v22, 0xff, v21
	v_and_b32_e32 v23, 0xff00, v21
	;; [unrolled: 1-line block ×4, first 2 shown]
	v_or_b32_e32 v22, v22, v23
	v_or3_b32 v20, v20, 0, 0
	v_or3_b32 v21, v22, v24, v21
.LBB32_43:                              ;   in Loop: Header=BB32_3 Depth=1
	s_or_b64 exec, exec, s[4:5]
	v_cmp_gt_u32_e32 vcc, 8, v7
                                        ; implicit-def: $vgpr22_vgpr23
                                        ; implicit-def: $sgpr14
	s_and_saveexec_b64 s[4:5], vcc
	s_xor_b64 s[4:5], exec, s[4:5]
	s_cbranch_execz .LBB32_49
; %bb.44:                               ;   in Loop: Header=BB32_3 Depth=1
	v_cmp_ne_u32_e32 vcc, 0, v7
	v_pk_mov_b32 v[22:23], 0, 0
	s_and_saveexec_b64 s[14:15], vcc
	s_cbranch_execz .LBB32_48
; %bb.45:                               ;   in Loop: Header=BB32_3 Depth=1
	s_mov_b64 s[16:17], 0
	v_pk_mov_b32 v[22:23], 0, 0
	s_mov_b64 s[18:19], 0
	s_mov_b64 s[20:21], 0
.LBB32_46:                              ;   Parent Loop BB32_3 Depth=1
                                        ; =>  This Inner Loop Header: Depth=2
	v_mov_b32_e32 v25, s21
	v_add_co_u32_e32 v24, vcc, s20, v10
	v_addc_co_u32_e32 v25, vcc, v11, v25, vcc
	flat_load_ubyte v24, v[24:25]
	s_add_u32 s20, s20, 1
	v_mov_b32_e32 v25, s22
	s_addc_u32 s21, s21, 0
	v_cmp_eq_u32_e32 vcc, s20, v7
	s_waitcnt vmcnt(0) lgkmcnt(0)
	v_and_b32_e32 v24, 0xffff, v24
	v_lshlrev_b64 v[24:25], s18, v[24:25]
	s_add_u32 s18, s18, 8
	s_addc_u32 s19, s19, 0
	v_or_b32_e32 v23, v25, v23
	s_or_b64 s[16:17], vcc, s[16:17]
	v_or_b32_e32 v22, v24, v22
	s_andn2_b64 exec, exec, s[16:17]
	s_cbranch_execnz .LBB32_46
; %bb.47:                               ;   in Loop: Header=BB32_3 Depth=1
	s_or_b64 exec, exec, s[16:17]
.LBB32_48:                              ;   in Loop: Header=BB32_3 Depth=1
	s_or_b64 exec, exec, s[14:15]
	s_mov_b32 s14, 0
                                        ; implicit-def: $vgpr7
.LBB32_49:                              ;   in Loop: Header=BB32_3 Depth=1
	s_or_saveexec_b64 s[4:5], s[4:5]
	v_mov_b32_e32 v26, s14
	s_xor_b64 exec, exec, s[4:5]
	s_cbranch_execz .LBB32_51
; %bb.50:                               ;   in Loop: Header=BB32_3 Depth=1
	flat_load_dwordx2 v[22:23], v[10:11]
	v_add_u32_e32 v26, -8, v7
	v_add_co_u32_e32 v10, vcc, 8, v10
	v_addc_co_u32_e32 v11, vcc, 0, v11, vcc
	s_waitcnt vmcnt(0) lgkmcnt(0)
	v_and_b32_e32 v7, 0xff, v23
	v_and_b32_e32 v24, 0xff00, v23
	;; [unrolled: 1-line block ×4, first 2 shown]
	v_or_b32_e32 v7, v7, v24
	v_or3_b32 v22, v22, 0, 0
	v_or3_b32 v23, v7, v25, v23
.LBB32_51:                              ;   in Loop: Header=BB32_3 Depth=1
	s_or_b64 exec, exec, s[4:5]
	v_cmp_gt_u32_e32 vcc, 8, v26
	s_and_saveexec_b64 s[4:5], vcc
	s_xor_b64 s[4:5], exec, s[4:5]
	s_cbranch_execz .LBB32_57
; %bb.52:                               ;   in Loop: Header=BB32_3 Depth=1
	v_cmp_ne_u32_e32 vcc, 0, v26
	v_pk_mov_b32 v[24:25], 0, 0
	s_and_saveexec_b64 s[14:15], vcc
	s_cbranch_execz .LBB32_56
; %bb.53:                               ;   in Loop: Header=BB32_3 Depth=1
	s_mov_b64 s[16:17], 0
	v_pk_mov_b32 v[24:25], 0, 0
	s_mov_b64 s[18:19], 0
.LBB32_54:                              ;   Parent Loop BB32_3 Depth=1
                                        ; =>  This Inner Loop Header: Depth=2
	flat_load_ubyte v7, v[10:11]
	v_mov_b32_e32 v29, s22
	v_add_co_u32_e32 v10, vcc, 1, v10
	v_add_u32_e32 v26, -1, v26
	v_addc_co_u32_e32 v11, vcc, 0, v11, vcc
	v_cmp_eq_u32_e32 vcc, 0, v26
	s_waitcnt vmcnt(0) lgkmcnt(0)
	v_and_b32_e32 v28, 0xffff, v7
	v_lshlrev_b64 v[28:29], s18, v[28:29]
	s_add_u32 s18, s18, 8
	s_addc_u32 s19, s19, 0
	v_or_b32_e32 v25, v29, v25
	s_or_b64 s[16:17], vcc, s[16:17]
	v_or_b32_e32 v24, v28, v24
	s_andn2_b64 exec, exec, s[16:17]
	s_cbranch_execnz .LBB32_54
; %bb.55:                               ;   in Loop: Header=BB32_3 Depth=1
	s_or_b64 exec, exec, s[16:17]
.LBB32_56:                              ;   in Loop: Header=BB32_3 Depth=1
	s_or_b64 exec, exec, s[14:15]
                                        ; implicit-def: $vgpr10_vgpr11
.LBB32_57:                              ;   in Loop: Header=BB32_3 Depth=1
	s_andn2_saveexec_b64 s[4:5], s[4:5]
	s_cbranch_execz .LBB32_59
; %bb.58:                               ;   in Loop: Header=BB32_3 Depth=1
	flat_load_dwordx2 v[10:11], v[10:11]
	s_waitcnt vmcnt(0) lgkmcnt(0)
	v_and_b32_e32 v7, 0xff, v11
	v_and_b32_e32 v24, 0xff00, v11
	;; [unrolled: 1-line block ×4, first 2 shown]
	v_or_b32_e32 v7, v7, v24
	v_or3_b32 v25, v7, v25, v11
	v_or3_b32 v24, v10, 0, 0
.LBB32_59:                              ;   in Loop: Header=BB32_3 Depth=1
	s_or_b64 exec, exec, s[4:5]
	v_readfirstlane_b32 s4, v32
	v_cmp_eq_u32_e64 s[4:5], s4, v32
	v_pk_mov_b32 v[10:11], 0, 0
	s_and_saveexec_b64 s[14:15], s[4:5]
	s_cbranch_execz .LBB32_65
; %bb.60:                               ;   in Loop: Header=BB32_3 Depth=1
	s_waitcnt lgkmcnt(0)
	global_load_dwordx2 v[28:29], v31, s[12:13] offset:24 glc
	s_waitcnt vmcnt(0)
	buffer_invl2
	buffer_wbinvl1_vol
	global_load_dwordx2 v[10:11], v31, s[12:13] offset:40
	global_load_dwordx2 v[26:27], v31, s[12:13]
	s_waitcnt vmcnt(1)
	v_and_b32_e32 v7, v10, v28
	v_and_b32_e32 v10, v11, v29
	v_mul_lo_u32 v10, v10, 24
	v_mul_hi_u32 v11, v7, 24
	v_mul_lo_u32 v7, v7, 24
	v_add_u32_e32 v11, v11, v10
	s_waitcnt vmcnt(0)
	v_add_co_u32_e32 v10, vcc, v26, v7
	v_addc_co_u32_e32 v11, vcc, v27, v11, vcc
	global_load_dwordx2 v[26:27], v[10:11], off glc
	s_waitcnt vmcnt(0)
	global_atomic_cmpswap_x2 v[10:11], v31, v[26:29], s[12:13] offset:24 glc
	s_waitcnt vmcnt(0)
	buffer_invl2
	buffer_wbinvl1_vol
	v_cmp_ne_u64_e32 vcc, v[10:11], v[28:29]
	s_and_saveexec_b64 s[16:17], vcc
	s_cbranch_execz .LBB32_64
; %bb.61:                               ;   in Loop: Header=BB32_3 Depth=1
	s_mov_b64 s[18:19], 0
.LBB32_62:                              ;   Parent Loop BB32_3 Depth=1
                                        ; =>  This Inner Loop Header: Depth=2
	s_sleep 1
	global_load_dwordx2 v[26:27], v31, s[12:13] offset:40
	global_load_dwordx2 v[36:37], v31, s[12:13]
	v_pk_mov_b32 v[28:29], v[10:11], v[10:11] op_sel:[0,1]
	s_waitcnt vmcnt(1)
	v_and_b32_e32 v10, v26, v28
	s_waitcnt vmcnt(0)
	v_mad_u64_u32 v[10:11], s[20:21], v10, 24, v[36:37]
	v_and_b32_e32 v7, v27, v29
	v_mov_b32_e32 v26, v11
	v_mad_u64_u32 v[26:27], s[20:21], v7, 24, v[26:27]
	v_mov_b32_e32 v11, v26
	global_load_dwordx2 v[26:27], v[10:11], off glc
	s_waitcnt vmcnt(0)
	global_atomic_cmpswap_x2 v[10:11], v31, v[26:29], s[12:13] offset:24 glc
	s_waitcnt vmcnt(0)
	buffer_invl2
	buffer_wbinvl1_vol
	v_cmp_eq_u64_e32 vcc, v[10:11], v[28:29]
	s_or_b64 s[18:19], vcc, s[18:19]
	s_andn2_b64 exec, exec, s[18:19]
	s_cbranch_execnz .LBB32_62
; %bb.63:                               ;   in Loop: Header=BB32_3 Depth=1
	s_or_b64 exec, exec, s[18:19]
.LBB32_64:                              ;   in Loop: Header=BB32_3 Depth=1
	s_or_b64 exec, exec, s[16:17]
.LBB32_65:                              ;   in Loop: Header=BB32_3 Depth=1
	s_or_b64 exec, exec, s[14:15]
	s_waitcnt lgkmcnt(0)
	global_load_dwordx2 v[36:37], v31, s[12:13] offset:40
	global_load_dwordx4 v[26:29], v31, s[12:13]
	v_readfirstlane_b32 s14, v10
	v_readfirstlane_b32 s15, v11
	s_mov_b64 s[16:17], exec
	s_waitcnt vmcnt(1)
	v_readfirstlane_b32 s18, v36
	v_readfirstlane_b32 s19, v37
	s_and_b64 s[18:19], s[14:15], s[18:19]
	s_mul_i32 s20, s19, 24
	s_mul_hi_u32 s21, s18, 24
	s_mul_i32 s24, s18, 24
	s_add_i32 s20, s21, s20
	v_mov_b32_e32 v7, s20
	s_waitcnt vmcnt(0)
	v_add_co_u32_e32 v36, vcc, s24, v26
	v_addc_co_u32_e32 v37, vcc, v27, v7, vcc
	s_and_saveexec_b64 s[20:21], s[4:5]
	s_cbranch_execz .LBB32_67
; %bb.66:                               ;   in Loop: Header=BB32_3 Depth=1
	v_pk_mov_b32 v[10:11], s[16:17], s[16:17] op_sel:[0,1]
	global_store_dwordx4 v[36:37], v[10:13], off offset:8
.LBB32_67:                              ;   in Loop: Header=BB32_3 Depth=1
	s_or_b64 exec, exec, s[20:21]
	s_lshl_b64 s[16:17], s[18:19], 12
	v_mov_b32_e32 v7, s17
	v_add_co_u32_e32 v10, vcc, s16, v28
	v_addc_co_u32_e32 v7, vcc, v29, v7, vcc
	v_or_b32_e32 v11, 0, v1
	v_cmp_lt_u64_e32 vcc, 56, v[4:5]
	v_or_b32_e32 v28, v0, v6
	v_cndmask_b32_e32 v1, v11, v1, vcc
	v_lshl_add_u32 v11, v34, 2, 28
	v_cndmask_b32_e32 v0, v28, v0, vcc
	v_and_b32_e32 v11, 0x1e0, v11
	v_and_or_b32 v0, v0, s23, v11
	v_lshlrev_b32_e32 v11, 6, v32
	v_readfirstlane_b32 s16, v10
	v_readfirstlane_b32 s17, v7
	s_nop 4
	global_store_dwordx4 v11, v[0:3], s[16:17]
	global_store_dwordx4 v11, v[14:17], s[16:17] offset:16
	global_store_dwordx4 v11, v[18:21], s[16:17] offset:32
	;; [unrolled: 1-line block ×3, first 2 shown]
	s_and_saveexec_b64 s[16:17], s[4:5]
	s_cbranch_execz .LBB32_75
; %bb.68:                               ;   in Loop: Header=BB32_3 Depth=1
	global_load_dwordx2 v[18:19], v31, s[12:13] offset:32 glc
	global_load_dwordx2 v[0:1], v31, s[12:13] offset:40
	v_mov_b32_e32 v16, s14
	v_mov_b32_e32 v17, s15
	s_waitcnt vmcnt(0)
	v_readfirstlane_b32 s18, v0
	v_readfirstlane_b32 s19, v1
	s_and_b64 s[18:19], s[18:19], s[14:15]
	s_mul_i32 s19, s19, 24
	s_mul_hi_u32 s20, s18, 24
	s_mul_i32 s18, s18, 24
	s_add_i32 s19, s20, s19
	v_mov_b32_e32 v0, s19
	v_add_co_u32_e32 v14, vcc, s18, v26
	v_addc_co_u32_e32 v15, vcc, v27, v0, vcc
	global_store_dwordx2 v[14:15], v[18:19], off
	buffer_wbl2
	s_waitcnt vmcnt(0)
	global_atomic_cmpswap_x2 v[2:3], v31, v[16:19], s[12:13] offset:32 glc
	s_waitcnt vmcnt(0)
	v_cmp_ne_u64_e32 vcc, v[2:3], v[18:19]
	s_and_saveexec_b64 s[18:19], vcc
	s_cbranch_execz .LBB32_71
; %bb.69:                               ;   in Loop: Header=BB32_3 Depth=1
	s_mov_b64 s[20:21], 0
.LBB32_70:                              ;   Parent Loop BB32_3 Depth=1
                                        ; =>  This Inner Loop Header: Depth=2
	s_sleep 1
	global_store_dwordx2 v[14:15], v[2:3], off
	v_mov_b32_e32 v0, s14
	v_mov_b32_e32 v1, s15
	buffer_wbl2
	s_waitcnt vmcnt(0)
	global_atomic_cmpswap_x2 v[0:1], v31, v[0:3], s[12:13] offset:32 glc
	s_waitcnt vmcnt(0)
	v_cmp_eq_u64_e32 vcc, v[0:1], v[2:3]
	s_or_b64 s[20:21], vcc, s[20:21]
	v_pk_mov_b32 v[2:3], v[0:1], v[0:1] op_sel:[0,1]
	s_andn2_b64 exec, exec, s[20:21]
	s_cbranch_execnz .LBB32_70
.LBB32_71:                              ;   in Loop: Header=BB32_3 Depth=1
	s_or_b64 exec, exec, s[18:19]
	global_load_dwordx2 v[0:1], v31, s[12:13] offset:16
	s_mov_b64 s[20:21], exec
	v_mbcnt_lo_u32_b32 v2, s20, 0
	v_mbcnt_hi_u32_b32 v2, s21, v2
	v_cmp_eq_u32_e32 vcc, 0, v2
	s_and_saveexec_b64 s[18:19], vcc
	s_cbranch_execz .LBB32_73
; %bb.72:                               ;   in Loop: Header=BB32_3 Depth=1
	s_bcnt1_i32_b64 s20, s[20:21]
	v_mov_b32_e32 v30, s20
	buffer_wbl2
	s_waitcnt vmcnt(0)
	global_atomic_add_x2 v[0:1], v[30:31], off offset:8
.LBB32_73:                              ;   in Loop: Header=BB32_3 Depth=1
	s_or_b64 exec, exec, s[18:19]
	s_waitcnt vmcnt(0)
	global_load_dwordx2 v[2:3], v[0:1], off offset:16
	s_waitcnt vmcnt(0)
	v_cmp_eq_u64_e32 vcc, 0, v[2:3]
	s_cbranch_vccnz .LBB32_75
; %bb.74:                               ;   in Loop: Header=BB32_3 Depth=1
	global_load_dword v30, v[0:1], off offset:24
	s_waitcnt vmcnt(0)
	v_and_b32_e32 v0, 0xffffff, v30
	v_readfirstlane_b32 m0, v0
	buffer_wbl2
	global_store_dwordx2 v[2:3], v[30:31], off
	s_sendmsg sendmsg(MSG_INTERRUPT)
.LBB32_75:                              ;   in Loop: Header=BB32_3 Depth=1
	s_or_b64 exec, exec, s[16:17]
	v_add_co_u32_e32 v0, vcc, v10, v11
	v_addc_co_u32_e32 v1, vcc, 0, v7, vcc
	s_branch .LBB32_79
.LBB32_76:                              ;   in Loop: Header=BB32_79 Depth=2
	s_or_b64 exec, exec, s[16:17]
	v_readfirstlane_b32 s16, v2
	s_cmp_eq_u32 s16, 0
	s_cbranch_scc1 .LBB32_78
; %bb.77:                               ;   in Loop: Header=BB32_79 Depth=2
	s_sleep 1
	s_cbranch_execnz .LBB32_79
	s_branch .LBB32_81
.LBB32_78:                              ;   in Loop: Header=BB32_3 Depth=1
	s_branch .LBB32_81
.LBB32_79:                              ;   Parent Loop BB32_3 Depth=1
                                        ; =>  This Inner Loop Header: Depth=2
	v_mov_b32_e32 v2, 1
	s_and_saveexec_b64 s[16:17], s[4:5]
	s_cbranch_execz .LBB32_76
; %bb.80:                               ;   in Loop: Header=BB32_79 Depth=2
	global_load_dword v2, v[36:37], off offset:20 glc
	s_waitcnt vmcnt(0)
	buffer_invl2
	buffer_wbinvl1_vol
	v_and_b32_e32 v2, 1, v2
	s_branch .LBB32_76
.LBB32_81:                              ;   in Loop: Header=BB32_3 Depth=1
	global_load_dwordx4 v[0:3], v[0:1], off
	s_and_saveexec_b64 s[16:17], s[4:5]
	s_cbranch_execz .LBB32_2
; %bb.82:                               ;   in Loop: Header=BB32_3 Depth=1
	global_load_dwordx2 v[2:3], v31, s[12:13] offset:40
	global_load_dwordx2 v[10:11], v31, s[12:13] offset:24 glc
	global_load_dwordx2 v[18:19], v31, s[12:13]
	v_mov_b32_e32 v7, s15
	s_waitcnt vmcnt(2)
	v_add_co_u32_e32 v17, vcc, 1, v2
	v_addc_co_u32_e32 v20, vcc, 0, v3, vcc
	v_add_co_u32_e32 v14, vcc, s14, v17
	v_addc_co_u32_e32 v15, vcc, v20, v7, vcc
	v_cmp_eq_u64_e32 vcc, 0, v[14:15]
	v_cndmask_b32_e32 v15, v15, v20, vcc
	v_cndmask_b32_e32 v14, v14, v17, vcc
	v_and_b32_e32 v3, v15, v3
	v_and_b32_e32 v2, v14, v2
	v_mul_lo_u32 v3, v3, 24
	v_mul_hi_u32 v7, v2, 24
	v_mul_lo_u32 v2, v2, 24
	v_add_u32_e32 v3, v7, v3
	s_waitcnt vmcnt(0)
	v_add_co_u32_e32 v2, vcc, v18, v2
	v_addc_co_u32_e32 v3, vcc, v19, v3, vcc
	v_mov_b32_e32 v16, v10
	global_store_dwordx2 v[2:3], v[10:11], off
	v_mov_b32_e32 v17, v11
	buffer_wbl2
	s_waitcnt vmcnt(0)
	global_atomic_cmpswap_x2 v[16:17], v31, v[14:17], s[12:13] offset:24 glc
	s_waitcnt vmcnt(0)
	v_cmp_ne_u64_e32 vcc, v[16:17], v[10:11]
	s_and_b64 exec, exec, vcc
	s_cbranch_execz .LBB32_2
; %bb.83:                               ;   in Loop: Header=BB32_3 Depth=1
	s_mov_b64 s[4:5], 0
.LBB32_84:                              ;   Parent Loop BB32_3 Depth=1
                                        ; =>  This Inner Loop Header: Depth=2
	s_sleep 1
	global_store_dwordx2 v[2:3], v[16:17], off
	buffer_wbl2
	s_waitcnt vmcnt(0)
	global_atomic_cmpswap_x2 v[10:11], v31, v[14:17], s[12:13] offset:24 glc
	s_waitcnt vmcnt(0)
	v_cmp_eq_u64_e32 vcc, v[10:11], v[16:17]
	s_or_b64 s[4:5], vcc, s[4:5]
	v_pk_mov_b32 v[16:17], v[10:11], v[10:11] op_sel:[0,1]
	s_andn2_b64 exec, exec, s[4:5]
	s_cbranch_execnz .LBB32_84
	s_branch .LBB32_2
.LBB32_85:
	s_or_b64 exec, exec, s[6:7]
                                        ; implicit-def: $vgpr0
                                        ; implicit-def: $vgpr1
                                        ; implicit-def: $vgpr2
.LBB32_86:
	s_andn2_saveexec_b64 s[6:7], s[10:11]
	s_cbranch_execz .LBB32_109
; %bb.87:
	s_load_dwordx2 s[8:9], s[8:9], 0x50
	s_waitcnt vmcnt(0)
	v_mbcnt_hi_u32_b32 v3, -1, v2
	v_readfirstlane_b32 s4, v3
	v_cmp_eq_u32_e64 s[4:5], s4, v3
	v_pk_mov_b32 v[8:9], 0, 0
	s_and_saveexec_b64 s[10:11], s[4:5]
	s_cbranch_execz .LBB32_93
; %bb.88:
	v_mov_b32_e32 v2, 0
	s_waitcnt lgkmcnt(0)
	global_load_dwordx2 v[6:7], v2, s[8:9] offset:24 glc
	s_waitcnt vmcnt(0)
	buffer_invl2
	buffer_wbinvl1_vol
	global_load_dwordx2 v[4:5], v2, s[8:9] offset:40
	global_load_dwordx2 v[8:9], v2, s[8:9]
	s_waitcnt vmcnt(1)
	v_and_b32_e32 v4, v4, v6
	v_and_b32_e32 v5, v5, v7
	v_mul_lo_u32 v5, v5, 24
	v_mul_hi_u32 v10, v4, 24
	v_mul_lo_u32 v4, v4, 24
	v_add_u32_e32 v5, v10, v5
	s_waitcnt vmcnt(0)
	v_add_co_u32_e32 v4, vcc, v8, v4
	v_addc_co_u32_e32 v5, vcc, v9, v5, vcc
	global_load_dwordx2 v[4:5], v[4:5], off glc
	s_waitcnt vmcnt(0)
	global_atomic_cmpswap_x2 v[8:9], v2, v[4:7], s[8:9] offset:24 glc
	s_waitcnt vmcnt(0)
	buffer_invl2
	buffer_wbinvl1_vol
	v_cmp_ne_u64_e32 vcc, v[8:9], v[6:7]
	s_and_saveexec_b64 s[12:13], vcc
	s_cbranch_execz .LBB32_92
; %bb.89:
	s_mov_b64 s[14:15], 0
.LBB32_90:                              ; =>This Inner Loop Header: Depth=1
	s_sleep 1
	global_load_dwordx2 v[4:5], v2, s[8:9] offset:40
	global_load_dwordx2 v[10:11], v2, s[8:9]
	v_pk_mov_b32 v[6:7], v[8:9], v[8:9] op_sel:[0,1]
	s_waitcnt vmcnt(1)
	v_and_b32_e32 v4, v4, v6
	v_and_b32_e32 v9, v5, v7
	s_waitcnt vmcnt(0)
	v_mad_u64_u32 v[4:5], s[16:17], v4, 24, v[10:11]
	v_mov_b32_e32 v8, v5
	v_mad_u64_u32 v[8:9], s[16:17], v9, 24, v[8:9]
	v_mov_b32_e32 v5, v8
	global_load_dwordx2 v[4:5], v[4:5], off glc
	s_waitcnt vmcnt(0)
	global_atomic_cmpswap_x2 v[8:9], v2, v[4:7], s[8:9] offset:24 glc
	s_waitcnt vmcnt(0)
	buffer_invl2
	buffer_wbinvl1_vol
	v_cmp_eq_u64_e32 vcc, v[8:9], v[6:7]
	s_or_b64 s[14:15], vcc, s[14:15]
	s_andn2_b64 exec, exec, s[14:15]
	s_cbranch_execnz .LBB32_90
; %bb.91:
	s_or_b64 exec, exec, s[14:15]
.LBB32_92:
	s_or_b64 exec, exec, s[12:13]
.LBB32_93:
	s_or_b64 exec, exec, s[10:11]
	v_mov_b32_e32 v2, 0
	s_waitcnt lgkmcnt(0)
	global_load_dwordx2 v[10:11], v2, s[8:9] offset:40
	global_load_dwordx4 v[4:7], v2, s[8:9]
	v_readfirstlane_b32 s10, v8
	v_readfirstlane_b32 s11, v9
	s_mov_b64 s[12:13], exec
	s_waitcnt vmcnt(1)
	v_readfirstlane_b32 s14, v10
	v_readfirstlane_b32 s15, v11
	s_and_b64 s[14:15], s[10:11], s[14:15]
	s_mul_i32 s16, s15, 24
	s_mul_hi_u32 s17, s14, 24
	s_mul_i32 s18, s14, 24
	s_add_i32 s16, s17, s16
	v_mov_b32_e32 v9, s16
	s_waitcnt vmcnt(0)
	v_add_co_u32_e32 v8, vcc, s18, v4
	v_addc_co_u32_e32 v9, vcc, v5, v9, vcc
	s_and_saveexec_b64 s[16:17], s[4:5]
	s_cbranch_execz .LBB32_95
; %bb.94:
	v_pk_mov_b32 v[10:11], s[12:13], s[12:13] op_sel:[0,1]
	v_mov_b32_e32 v12, 2
	v_mov_b32_e32 v13, 1
	global_store_dwordx4 v[8:9], v[10:13], off offset:8
.LBB32_95:
	s_or_b64 exec, exec, s[16:17]
	s_lshl_b64 s[12:13], s[14:15], 12
	v_mov_b32_e32 v10, s13
	v_add_co_u32_e32 v6, vcc, s12, v6
	s_movk_i32 s12, 0xff1f
	v_addc_co_u32_e32 v7, vcc, v7, v10, vcc
	v_and_or_b32 v0, v0, s12, 32
	s_mov_b32 s12, 0
	v_lshlrev_b32_e32 v10, 6, v3
	v_mov_b32_e32 v3, v2
	v_readfirstlane_b32 s16, v6
	v_readfirstlane_b32 s17, v7
	s_mov_b32 s13, s12
	s_mov_b32 s14, s12
	;; [unrolled: 1-line block ×3, first 2 shown]
	s_nop 1
	global_store_dwordx4 v10, v[0:3], s[16:17]
	s_nop 0
	v_pk_mov_b32 v[0:1], s[12:13], s[12:13] op_sel:[0,1]
	v_pk_mov_b32 v[2:3], s[14:15], s[14:15] op_sel:[0,1]
	global_store_dwordx4 v10, v[0:3], s[16:17] offset:16
	global_store_dwordx4 v10, v[0:3], s[16:17] offset:32
	global_store_dwordx4 v10, v[0:3], s[16:17] offset:48
	s_and_saveexec_b64 s[12:13], s[4:5]
	s_cbranch_execz .LBB32_103
; %bb.96:
	v_mov_b32_e32 v6, 0
	global_load_dwordx2 v[12:13], v6, s[8:9] offset:32 glc
	global_load_dwordx2 v[0:1], v6, s[8:9] offset:40
	v_mov_b32_e32 v10, s10
	v_mov_b32_e32 v11, s11
	s_waitcnt vmcnt(0)
	v_and_b32_e32 v0, s10, v0
	v_and_b32_e32 v1, s11, v1
	v_mul_lo_u32 v1, v1, 24
	v_mul_hi_u32 v2, v0, 24
	v_mul_lo_u32 v0, v0, 24
	v_add_u32_e32 v1, v2, v1
	v_add_co_u32_e32 v4, vcc, v4, v0
	v_addc_co_u32_e32 v5, vcc, v5, v1, vcc
	global_store_dwordx2 v[4:5], v[12:13], off
	buffer_wbl2
	s_waitcnt vmcnt(0)
	global_atomic_cmpswap_x2 v[2:3], v6, v[10:13], s[8:9] offset:32 glc
	s_waitcnt vmcnt(0)
	v_cmp_ne_u64_e32 vcc, v[2:3], v[12:13]
	s_and_saveexec_b64 s[14:15], vcc
	s_cbranch_execz .LBB32_99
; %bb.97:
	s_mov_b64 s[16:17], 0
.LBB32_98:                              ; =>This Inner Loop Header: Depth=1
	s_sleep 1
	global_store_dwordx2 v[4:5], v[2:3], off
	v_mov_b32_e32 v0, s10
	v_mov_b32_e32 v1, s11
	buffer_wbl2
	s_waitcnt vmcnt(0)
	global_atomic_cmpswap_x2 v[0:1], v6, v[0:3], s[8:9] offset:32 glc
	s_waitcnt vmcnt(0)
	v_cmp_eq_u64_e32 vcc, v[0:1], v[2:3]
	s_or_b64 s[16:17], vcc, s[16:17]
	v_pk_mov_b32 v[2:3], v[0:1], v[0:1] op_sel:[0,1]
	s_andn2_b64 exec, exec, s[16:17]
	s_cbranch_execnz .LBB32_98
.LBB32_99:
	s_or_b64 exec, exec, s[14:15]
	v_mov_b32_e32 v3, 0
	global_load_dwordx2 v[0:1], v3, s[8:9] offset:16
	s_mov_b64 s[14:15], exec
	v_mbcnt_lo_u32_b32 v2, s14, 0
	v_mbcnt_hi_u32_b32 v2, s15, v2
	v_cmp_eq_u32_e32 vcc, 0, v2
	s_and_saveexec_b64 s[16:17], vcc
	s_cbranch_execz .LBB32_101
; %bb.100:
	s_bcnt1_i32_b64 s14, s[14:15]
	v_mov_b32_e32 v2, s14
	buffer_wbl2
	s_waitcnt vmcnt(0)
	global_atomic_add_x2 v[0:1], v[2:3], off offset:8
.LBB32_101:
	s_or_b64 exec, exec, s[16:17]
	s_waitcnt vmcnt(0)
	global_load_dwordx2 v[2:3], v[0:1], off offset:16
	s_waitcnt vmcnt(0)
	v_cmp_eq_u64_e32 vcc, 0, v[2:3]
	s_cbranch_vccnz .LBB32_103
; %bb.102:
	global_load_dword v0, v[0:1], off offset:24
	v_mov_b32_e32 v1, 0
	buffer_wbl2
	s_waitcnt vmcnt(0)
	global_store_dwordx2 v[2:3], v[0:1], off
	v_and_b32_e32 v0, 0xffffff, v0
	v_readfirstlane_b32 m0, v0
	s_sendmsg sendmsg(MSG_INTERRUPT)
.LBB32_103:
	s_or_b64 exec, exec, s[12:13]
	s_branch .LBB32_107
.LBB32_104:                             ;   in Loop: Header=BB32_107 Depth=1
	s_or_b64 exec, exec, s[12:13]
	v_readfirstlane_b32 s12, v0
	s_cmp_eq_u32 s12, 0
	s_cbranch_scc1 .LBB32_106
; %bb.105:                              ;   in Loop: Header=BB32_107 Depth=1
	s_sleep 1
	s_cbranch_execnz .LBB32_107
	s_branch .LBB32_110
.LBB32_106:
	s_branch .LBB32_110
.LBB32_107:                             ; =>This Inner Loop Header: Depth=1
	v_mov_b32_e32 v0, 1
	s_and_saveexec_b64 s[12:13], s[4:5]
	s_cbranch_execz .LBB32_104
; %bb.108:                              ;   in Loop: Header=BB32_107 Depth=1
	global_load_dword v0, v[8:9], off offset:20 glc
	s_waitcnt vmcnt(0)
	buffer_invl2
	buffer_wbinvl1_vol
	v_and_b32_e32 v0, 1, v0
	s_branch .LBB32_104
.LBB32_109:
	s_or_b64 exec, exec, s[6:7]
	s_waitcnt vmcnt(0) lgkmcnt(0)
	s_setpc_b64 s[30:31]
.LBB32_110:
	s_and_saveexec_b64 s[12:13], s[4:5]
	s_cbranch_execz .LBB32_113
; %bb.111:
	v_mov_b32_e32 v6, 0
	global_load_dwordx2 v[4:5], v6, s[8:9] offset:40
	global_load_dwordx2 v[8:9], v6, s[8:9] offset:24 glc
	global_load_dwordx2 v[10:11], v6, s[8:9]
	v_mov_b32_e32 v1, s11
	s_mov_b64 s[4:5], 0
	s_waitcnt vmcnt(2)
	v_add_co_u32_e32 v3, vcc, 1, v4
	v_addc_co_u32_e32 v7, vcc, 0, v5, vcc
	v_add_co_u32_e32 v0, vcc, s10, v3
	v_addc_co_u32_e32 v1, vcc, v7, v1, vcc
	v_cmp_eq_u64_e32 vcc, 0, v[0:1]
	v_cndmask_b32_e32 v1, v1, v7, vcc
	v_cndmask_b32_e32 v0, v0, v3, vcc
	v_and_b32_e32 v3, v1, v5
	v_and_b32_e32 v4, v0, v4
	v_mul_lo_u32 v3, v3, 24
	v_mul_hi_u32 v5, v4, 24
	v_mul_lo_u32 v4, v4, 24
	v_add_u32_e32 v3, v5, v3
	s_waitcnt vmcnt(0)
	v_add_co_u32_e32 v4, vcc, v10, v4
	v_addc_co_u32_e32 v5, vcc, v11, v3, vcc
	v_mov_b32_e32 v2, v8
	global_store_dwordx2 v[4:5], v[8:9], off
	v_mov_b32_e32 v3, v9
	buffer_wbl2
	s_waitcnt vmcnt(0)
	global_atomic_cmpswap_x2 v[2:3], v6, v[0:3], s[8:9] offset:24 glc
	s_waitcnt vmcnt(0)
	v_cmp_ne_u64_e32 vcc, v[2:3], v[8:9]
	s_and_b64 exec, exec, vcc
	s_cbranch_execz .LBB32_113
.LBB32_112:                             ; =>This Inner Loop Header: Depth=1
	s_sleep 1
	global_store_dwordx2 v[4:5], v[2:3], off
	buffer_wbl2
	s_waitcnt vmcnt(0)
	global_atomic_cmpswap_x2 v[8:9], v6, v[0:3], s[8:9] offset:24 glc
	s_waitcnt vmcnt(0)
	v_cmp_eq_u64_e32 vcc, v[8:9], v[2:3]
	s_or_b64 s[4:5], vcc, s[4:5]
	v_pk_mov_b32 v[2:3], v[8:9], v[8:9] op_sel:[0,1]
	s_andn2_b64 exec, exec, s[4:5]
	s_cbranch_execnz .LBB32_112
.LBB32_113:
	s_or_b64 exec, exec, s[12:13]
	s_or_b64 exec, exec, s[6:7]
	s_waitcnt vmcnt(0) lgkmcnt(0)
	s_setpc_b64 s[30:31]
.Lfunc_end32:
	.size	__ockl_fprintf_append_string_n, .Lfunc_end32-__ockl_fprintf_append_string_n
                                        ; -- End function
	.section	.AMDGPU.csdata,"",@progbits
; Function info:
; codeLenInByte = 4372
; NumSgprs: 36
; NumVgprs: 38
; NumAgprs: 0
; TotalNumVgprs: 38
; ScratchSize: 0
; MemoryBound: 0
	.text
	.p2align	2                               ; -- Begin function __assert_fail
	.type	__assert_fail,@function
__assert_fail:                          ; @__assert_fail
; %bb.0:
	s_waitcnt vmcnt(0) expcnt(0) lgkmcnt(0)
	s_mov_b32 s25, s33
	s_mov_b32 s33, s32
	s_or_saveexec_b64 s[4:5], -1
	buffer_store_dword v40, off, s[0:3], s33 offset:48 ; 4-byte Folded Spill
	s_mov_b64 exec, s[4:5]
	v_writelane_b32 v40, s30, 0
	s_addk_i32 s32, 0x1000
	v_writelane_b32 v40, s31, 1
	s_getpc_b64 s[4:5]
	s_add_u32 s4, s4, __const.__assert_fail.fmt@rel32@lo+4
	s_addc_u32 s5, s5, __const.__assert_fail.fmt@rel32@hi+12
	s_load_dwordx4 s[4:7], s[4:5], 0x0
	v_mov_b32_e32 v31, v2
	v_mov_b32_e32 v2, 0xa2e
	buffer_store_short v2, off, s[0:3], s33 offset:44
	v_mov_b32_e32 v2, 0x64656c69
	buffer_store_dword v2, off, s[0:3], s33 offset:40
	v_mov_b32_e32 v2, 0x61662027
	s_getpc_b64 s[10:11]
	s_add_u32 s10, s10, __const.__assert_fail.fmt@rel32@lo+20
	s_addc_u32 s11, s11, __const.__assert_fail.fmt@rel32@hi+28
	buffer_store_dword v2, off, s[0:3], s33 offset:36
	v_mov_b32_e32 v2, 0x73256020
	s_load_dwordx4 s[12:15], s[10:11], 0x0
	buffer_store_dword v2, off, s[0:3], s33 offset:32
	s_waitcnt lgkmcnt(0)
	v_mov_b32_e32 v2, s7
	buffer_store_dword v2, off, s[0:3], s33 offset:12
	v_mov_b32_e32 v2, s6
	buffer_store_dword v2, off, s[0:3], s33 offset:8
	;; [unrolled: 2-line block ×3, first 2 shown]
	v_mov_b32_e32 v2, s4
	buffer_store_dword v2, off, s[0:3], s33
	v_mov_b32_e32 v2, s15
	buffer_store_dword v2, off, s[0:3], s33 offset:28
	v_mov_b32_e32 v2, s14
	buffer_store_dword v2, off, s[0:3], s33 offset:24
	;; [unrolled: 2-line block ×3, first 2 shown]
	v_mov_b32_e32 v2, s12
	s_load_dwordx2 s[10:11], s[8:9], 0x50
	buffer_store_dword v2, off, s[0:3], s33 offset:16
	v_mbcnt_lo_u32_b32 v2, -1, 0
	v_mbcnt_hi_u32_b32 v39, -1, v2
	v_readfirstlane_b32 s4, v39
	v_mov_b32_e32 v30, v1
	v_mov_b32_e32 v1, 0
	v_cmp_eq_u32_e64 s[4:5], s4, v39
	v_pk_mov_b32 v[6:7], 0, 0
	buffer_store_byte v1, off, s[0:3], s33 offset:46
	s_and_saveexec_b64 s[6:7], s[4:5]
	s_cbranch_execz .LBB33_6
; %bb.1:
	s_waitcnt lgkmcnt(0)
	global_load_dwordx2 v[4:5], v1, s[10:11] offset:24 glc
	s_waitcnt vmcnt(0)
	buffer_invl2
	buffer_wbinvl1_vol
	global_load_dwordx2 v[2:3], v1, s[10:11] offset:40
	global_load_dwordx2 v[6:7], v1, s[10:11]
	s_waitcnt vmcnt(1)
	v_and_b32_e32 v2, v2, v4
	v_and_b32_e32 v3, v3, v5
	v_mul_lo_u32 v3, v3, 24
	v_mul_hi_u32 v8, v2, 24
	v_mul_lo_u32 v2, v2, 24
	v_add_u32_e32 v3, v8, v3
	s_waitcnt vmcnt(0)
	v_add_co_u32_e32 v2, vcc, v6, v2
	v_addc_co_u32_e32 v3, vcc, v7, v3, vcc
	global_load_dwordx2 v[2:3], v[2:3], off glc
	s_waitcnt vmcnt(0)
	global_atomic_cmpswap_x2 v[6:7], v1, v[2:5], s[10:11] offset:24 glc
	s_waitcnt vmcnt(0)
	buffer_invl2
	buffer_wbinvl1_vol
	v_cmp_ne_u64_e32 vcc, v[6:7], v[4:5]
	s_and_saveexec_b64 s[12:13], vcc
	s_cbranch_execz .LBB33_5
; %bb.2:
	s_mov_b64 s[14:15], 0
.LBB33_3:                               ; =>This Inner Loop Header: Depth=1
	s_sleep 1
	global_load_dwordx2 v[2:3], v1, s[10:11] offset:40
	global_load_dwordx2 v[8:9], v1, s[10:11]
	v_pk_mov_b32 v[4:5], v[6:7], v[6:7] op_sel:[0,1]
	s_waitcnt vmcnt(1)
	v_and_b32_e32 v2, v2, v4
	v_and_b32_e32 v7, v3, v5
	s_waitcnt vmcnt(0)
	v_mad_u64_u32 v[2:3], s[16:17], v2, 24, v[8:9]
	v_mov_b32_e32 v6, v3
	v_mad_u64_u32 v[6:7], s[16:17], v7, 24, v[6:7]
	v_mov_b32_e32 v3, v6
	global_load_dwordx2 v[2:3], v[2:3], off glc
	s_waitcnt vmcnt(0)
	global_atomic_cmpswap_x2 v[6:7], v1, v[2:5], s[10:11] offset:24 glc
	s_waitcnt vmcnt(0)
	buffer_invl2
	buffer_wbinvl1_vol
	v_cmp_eq_u64_e32 vcc, v[6:7], v[4:5]
	s_or_b64 s[14:15], vcc, s[14:15]
	s_andn2_b64 exec, exec, s[14:15]
	s_cbranch_execnz .LBB33_3
; %bb.4:
	s_or_b64 exec, exec, s[14:15]
.LBB33_5:
	s_or_b64 exec, exec, s[12:13]
.LBB33_6:
	s_or_b64 exec, exec, s[6:7]
	s_waitcnt lgkmcnt(0)
	global_load_dwordx2 v[8:9], v1, s[10:11] offset:40
	global_load_dwordx4 v[2:5], v1, s[10:11]
	v_readfirstlane_b32 s6, v6
	v_readfirstlane_b32 s7, v7
	s_mov_b64 s[12:13], exec
	s_waitcnt vmcnt(1)
	v_readfirstlane_b32 s14, v8
	v_readfirstlane_b32 s15, v9
	s_and_b64 s[14:15], s[6:7], s[14:15]
	s_mul_i32 s16, s15, 24
	s_mul_hi_u32 s17, s14, 24
	s_mul_i32 s18, s14, 24
	s_add_i32 s16, s17, s16
	v_mov_b32_e32 v1, s16
	s_waitcnt vmcnt(0)
	v_add_co_u32_e32 v10, vcc, s18, v2
	v_addc_co_u32_e32 v11, vcc, v3, v1, vcc
	s_and_saveexec_b64 s[16:17], s[4:5]
	s_cbranch_execz .LBB33_8
; %bb.7:
	v_pk_mov_b32 v[6:7], s[12:13], s[12:13] op_sel:[0,1]
	v_mov_b32_e32 v8, 2
	v_mov_b32_e32 v9, 1
	global_store_dwordx4 v[10:11], v[6:9], off offset:8
.LBB33_8:
	s_or_b64 exec, exec, s[16:17]
	s_lshl_b64 s[12:13], s[14:15], 12
	v_mov_b32_e32 v1, s13
	v_add_co_u32_e32 v8, vcc, s12, v4
	v_addc_co_u32_e32 v1, vcc, v5, v1, vcc
	s_mov_b32 s12, 0
	v_mov_b32_e32 v5, 0
	v_lshlrev_b32_e32 v38, 6, v39
	v_mov_b32_e32 v4, 33
	v_mov_b32_e32 v6, 1
	;; [unrolled: 1-line block ×3, first 2 shown]
	v_readfirstlane_b32 s16, v8
	v_readfirstlane_b32 s17, v1
	s_mov_b32 s13, s12
	v_add_co_u32_e32 v12, vcc, v8, v38
	s_mov_b32 s14, s12
	s_mov_b32 s15, s12
	s_nop 0
	global_store_dwordx4 v38, v[4:7], s[16:17]
	v_addc_co_u32_e32 v13, vcc, 0, v1, vcc
	v_pk_mov_b32 v[6:7], s[12:13], s[12:13] op_sel:[0,1]
	v_pk_mov_b32 v[8:9], s[14:15], s[14:15] op_sel:[0,1]
	global_store_dwordx4 v38, v[6:9], s[16:17] offset:16
	global_store_dwordx4 v38, v[6:9], s[16:17] offset:32
	;; [unrolled: 1-line block ×3, first 2 shown]
	s_and_saveexec_b64 s[12:13], s[4:5]
	s_cbranch_execz .LBB33_16
; %bb.9:
	global_load_dwordx2 v[16:17], v5, s[10:11] offset:32 glc
	global_load_dwordx2 v[6:7], v5, s[10:11] offset:40
	v_mov_b32_e32 v14, s6
	v_mov_b32_e32 v15, s7
	s_waitcnt vmcnt(0)
	v_and_b32_e32 v1, s6, v6
	v_and_b32_e32 v4, s7, v7
	v_mul_lo_u32 v4, v4, 24
	v_mul_hi_u32 v6, v1, 24
	v_mul_lo_u32 v1, v1, 24
	v_add_u32_e32 v4, v6, v4
	v_add_co_u32_e32 v2, vcc, v2, v1
	v_addc_co_u32_e32 v3, vcc, v3, v4, vcc
	global_store_dwordx2 v[2:3], v[16:17], off
	buffer_wbl2
	s_waitcnt vmcnt(0)
	global_atomic_cmpswap_x2 v[8:9], v5, v[14:17], s[10:11] offset:32 glc
	s_waitcnt vmcnt(0)
	v_cmp_ne_u64_e32 vcc, v[8:9], v[16:17]
	s_and_saveexec_b64 s[14:15], vcc
	s_cbranch_execz .LBB33_12
; %bb.10:
	s_mov_b64 s[16:17], 0
.LBB33_11:                              ; =>This Inner Loop Header: Depth=1
	s_sleep 1
	global_store_dwordx2 v[2:3], v[8:9], off
	v_mov_b32_e32 v6, s6
	v_mov_b32_e32 v7, s7
	buffer_wbl2
	s_waitcnt vmcnt(0)
	global_atomic_cmpswap_x2 v[6:7], v5, v[6:9], s[10:11] offset:32 glc
	s_waitcnt vmcnt(0)
	v_cmp_eq_u64_e32 vcc, v[6:7], v[8:9]
	s_or_b64 s[16:17], vcc, s[16:17]
	v_pk_mov_b32 v[8:9], v[6:7], v[6:7] op_sel:[0,1]
	s_andn2_b64 exec, exec, s[16:17]
	s_cbranch_execnz .LBB33_11
.LBB33_12:
	s_or_b64 exec, exec, s[14:15]
	v_mov_b32_e32 v5, 0
	global_load_dwordx2 v[2:3], v5, s[10:11] offset:16
	s_mov_b64 s[14:15], exec
	v_mbcnt_lo_u32_b32 v1, s14, 0
	v_mbcnt_hi_u32_b32 v1, s15, v1
	v_cmp_eq_u32_e32 vcc, 0, v1
	s_and_saveexec_b64 s[16:17], vcc
	s_cbranch_execz .LBB33_14
; %bb.13:
	s_bcnt1_i32_b64 s14, s[14:15]
	v_mov_b32_e32 v4, s14
	buffer_wbl2
	s_waitcnt vmcnt(0)
	global_atomic_add_x2 v[2:3], v[4:5], off offset:8
.LBB33_14:
	s_or_b64 exec, exec, s[16:17]
	s_waitcnt vmcnt(0)
	global_load_dwordx2 v[4:5], v[2:3], off offset:16
	s_waitcnt vmcnt(0)
	v_cmp_eq_u64_e32 vcc, 0, v[4:5]
	s_cbranch_vccnz .LBB33_16
; %bb.15:
	global_load_dword v2, v[2:3], off offset:24
	v_mov_b32_e32 v3, 0
	s_waitcnt vmcnt(0)
	v_and_b32_e32 v1, 0xffffff, v2
	v_readfirstlane_b32 m0, v1
	buffer_wbl2
	global_store_dwordx2 v[4:5], v[2:3], off
	s_sendmsg sendmsg(MSG_INTERRUPT)
.LBB33_16:
	s_or_b64 exec, exec, s[12:13]
	s_branch .LBB33_20
.LBB33_17:                              ;   in Loop: Header=BB33_20 Depth=1
	s_or_b64 exec, exec, s[12:13]
	v_readfirstlane_b32 s12, v1
	s_cmp_eq_u32 s12, 0
	s_cbranch_scc1 .LBB33_19
; %bb.18:                               ;   in Loop: Header=BB33_20 Depth=1
	s_sleep 1
	s_cbranch_execnz .LBB33_20
	s_branch .LBB33_22
.LBB33_19:
	s_branch .LBB33_22
.LBB33_20:                              ; =>This Inner Loop Header: Depth=1
	v_mov_b32_e32 v1, 1
	s_and_saveexec_b64 s[12:13], s[4:5]
	s_cbranch_execz .LBB33_17
; %bb.21:                               ;   in Loop: Header=BB33_20 Depth=1
	global_load_dword v1, v[10:11], off offset:20 glc
	s_waitcnt vmcnt(0)
	buffer_invl2
	buffer_wbinvl1_vol
	v_and_b32_e32 v1, 1, v1
	s_branch .LBB33_17
.LBB33_22:
	global_load_dwordx2 v[6:7], v[12:13], off
	s_and_saveexec_b64 s[12:13], s[4:5]
	s_cbranch_execz .LBB33_25
; %bb.23:
	v_mov_b32_e32 v1, 0
	global_load_dwordx2 v[8:9], v1, s[10:11] offset:40
	global_load_dwordx2 v[10:11], v1, s[10:11] offset:24 glc
	global_load_dwordx2 v[12:13], v1, s[10:11]
	v_mov_b32_e32 v3, s7
	s_mov_b64 s[4:5], 0
	s_waitcnt vmcnt(2)
	v_add_co_u32_e32 v5, vcc, 1, v8
	v_addc_co_u32_e32 v14, vcc, 0, v9, vcc
	v_add_co_u32_e32 v2, vcc, s6, v5
	v_addc_co_u32_e32 v3, vcc, v14, v3, vcc
	v_cmp_eq_u64_e32 vcc, 0, v[2:3]
	v_cndmask_b32_e32 v3, v3, v14, vcc
	v_cndmask_b32_e32 v2, v2, v5, vcc
	v_and_b32_e32 v5, v3, v9
	v_and_b32_e32 v8, v2, v8
	v_mul_lo_u32 v5, v5, 24
	v_mul_hi_u32 v9, v8, 24
	v_mul_lo_u32 v8, v8, 24
	v_add_u32_e32 v5, v9, v5
	s_waitcnt vmcnt(0)
	v_add_co_u32_e32 v8, vcc, v12, v8
	v_addc_co_u32_e32 v9, vcc, v13, v5, vcc
	v_mov_b32_e32 v4, v10
	global_store_dwordx2 v[8:9], v[10:11], off
	v_mov_b32_e32 v5, v11
	buffer_wbl2
	s_waitcnt vmcnt(0)
	global_atomic_cmpswap_x2 v[4:5], v1, v[2:5], s[10:11] offset:24 glc
	s_waitcnt vmcnt(0)
	v_cmp_ne_u64_e32 vcc, v[4:5], v[10:11]
	s_and_b64 exec, exec, vcc
	s_cbranch_execz .LBB33_25
.LBB33_24:                              ; =>This Inner Loop Header: Depth=1
	s_sleep 1
	global_store_dwordx2 v[8:9], v[4:5], off
	buffer_wbl2
	s_waitcnt vmcnt(0)
	global_atomic_cmpswap_x2 v[10:11], v1, v[2:5], s[10:11] offset:24 glc
	s_waitcnt vmcnt(0)
	v_cmp_eq_u64_e32 vcc, v[10:11], v[4:5]
	s_or_b64 s[4:5], vcc, s[4:5]
	v_pk_mov_b32 v[4:5], v[10:11], v[10:11] op_sel:[0,1]
	s_andn2_b64 exec, exec, s[4:5]
	s_cbranch_execnz .LBB33_24
.LBB33_25:
	s_or_b64 exec, exec, s[12:13]
	v_lshrrev_b32_e64 v2, 6, s33
	s_mov_b64 s[4:5], 0
.LBB33_26:                              ; =>This Inner Loop Header: Depth=1
	buffer_load_ubyte v3, v2, s[0:3], 0 offen
	v_add_u32_e32 v1, 1, v2
	v_mov_b32_e32 v2, v1
	s_waitcnt vmcnt(0)
	v_cmp_eq_u16_e32 vcc, 0, v3
	s_or_b64 s[4:5], vcc, s[4:5]
	s_andn2_b64 exec, exec, s[4:5]
	s_cbranch_execnz .LBB33_26
; %bb.27:
	s_or_b64 exec, exec, s[4:5]
	v_lshrrev_b32_e64 v33, 6, s33
	v_cmp_ne_u32_e32 vcc, -1, v33
	s_cbranch_vccz .LBB33_112
; %bb.28:
	v_lshrrev_b32_e64 v2, 6, s33
	v_subrev_u32_e32 v28, v2, v1
	v_ashrrev_i32_e32 v29, 31, v28
	v_and_b32_e32 v32, 2, v6
	v_mov_b32_e32 v35, 0
	v_and_b32_e32 v2, -3, v6
	v_mov_b32_e32 v3, v7
	s_mov_b64 s[12:13], 0
	s_mov_b32 s20, 0
	s_movk_i32 s21, 0xff1f
	v_mov_b32_e32 v10, 2
	v_mov_b32_e32 v11, 1
	s_branch .LBB33_30
.LBB33_29:                              ;   in Loop: Header=BB33_30 Depth=1
	s_or_b64 exec, exec, s[6:7]
	v_sub_co_u32_e32 v28, vcc, v28, v48
	v_subb_co_u32_e32 v29, vcc, v29, v9, vcc
	v_cmp_eq_u64_e32 vcc, 0, v[28:29]
	s_or_b64 s[12:13], vcc, s[12:13]
	v_add_u32_e32 v33, v33, v48
	s_andn2_b64 exec, exec, s[12:13]
	s_cbranch_execz .LBB33_113
.LBB33_30:                              ; =>This Loop Header: Depth=1
                                        ;     Child Loop BB33_33 Depth 2
                                        ;     Child Loop BB33_41 Depth 2
	;; [unrolled: 1-line block ×11, first 2 shown]
	v_cmp_gt_u64_e32 vcc, 56, v[28:29]
	v_cndmask_b32_e32 v48, 56, v28, vcc
	v_cmp_gt_u64_e64 s[4:5], 8, v[28:29]
                                        ; implicit-def: $vgpr4_vgpr5
                                        ; implicit-def: $sgpr14
	s_and_saveexec_b64 s[6:7], s[4:5]
	s_xor_b64 s[6:7], exec, s[6:7]
	s_cbranch_execz .LBB33_36
; %bb.31:                               ;   in Loop: Header=BB33_30 Depth=1
	s_mov_b64 s[16:17], 0
	v_cmp_ne_u64_e64 s[4:5], 0, v[28:29]
	s_waitcnt vmcnt(0)
	v_pk_mov_b32 v[4:5], 0, 0
	s_and_saveexec_b64 s[14:15], s[4:5]
	s_cbranch_execz .LBB33_35
; %bb.32:                               ;   in Loop: Header=BB33_30 Depth=1
	s_mov_b32 s22, 0
	v_pk_mov_b32 v[4:5], 0, 0
	s_mov_b64 s[18:19], 0
.LBB33_33:                              ;   Parent Loop BB33_30 Depth=1
                                        ; =>  This Inner Loop Header: Depth=2
	v_add_u32_e32 v1, s22, v33
	buffer_load_ubyte v1, v1, s[0:3], 0 offen
	v_mov_b32_e32 v9, s20
	s_add_i32 s22, s22, 1
	v_cmp_eq_u32_e64 s[4:5], s22, v48
	s_waitcnt vmcnt(0)
	v_and_b32_e32 v8, 0xffff, v1
	v_lshlrev_b64 v[8:9], s18, v[8:9]
	s_add_u32 s18, s18, 8
	s_addc_u32 s19, s19, 0
	v_or_b32_e32 v5, v9, v5
	s_or_b64 s[16:17], s[4:5], s[16:17]
	v_or_b32_e32 v4, v8, v4
	s_andn2_b64 exec, exec, s[16:17]
	s_cbranch_execnz .LBB33_33
; %bb.34:                               ;   in Loop: Header=BB33_30 Depth=1
	s_or_b64 exec, exec, s[16:17]
.LBB33_35:                              ;   in Loop: Header=BB33_30 Depth=1
	s_or_b64 exec, exec, s[14:15]
	s_mov_b32 s14, 0
.LBB33_36:                              ;   in Loop: Header=BB33_30 Depth=1
	s_or_saveexec_b64 s[4:5], s[6:7]
	v_mov_b32_e32 v8, s14
	v_mov_b32_e32 v1, v33
	s_xor_b64 exec, exec, s[4:5]
	s_cbranch_execz .LBB33_38
; %bb.37:                               ;   in Loop: Header=BB33_30 Depth=1
	buffer_load_dword v1, v33, s[0:3], 0 offen offset:4
	buffer_load_dword v4, v33, s[0:3], 0 offen
	v_add_u32_e32 v8, -8, v48
	s_waitcnt vmcnt(1)
	v_and_b32_e32 v5, 0xff, v1
	v_and_b32_e32 v9, 0xff00, v1
	s_waitcnt vmcnt(0)
	v_or3_b32 v4, v4, 0, 0
	v_and_b32_e32 v12, 0xff0000, v1
	v_and_b32_e32 v1, 0xff000000, v1
	v_or3_b32 v5, 0, v5, v9
	v_or3_b32 v4, v4, 0, 0
	v_or3_b32 v5, v5, v12, v1
	v_add_u32_e32 v1, 8, v33
.LBB33_38:                              ;   in Loop: Header=BB33_30 Depth=1
	s_or_b64 exec, exec, s[4:5]
	v_cmp_gt_u32_e64 s[4:5], 8, v8
                                        ; implicit-def: $vgpr12_vgpr13
                                        ; implicit-def: $sgpr14
	s_and_saveexec_b64 s[6:7], s[4:5]
	s_xor_b64 s[6:7], exec, s[6:7]
	s_cbranch_execz .LBB33_44
; %bb.39:                               ;   in Loop: Header=BB33_30 Depth=1
	v_cmp_ne_u32_e64 s[4:5], 0, v8
	v_pk_mov_b32 v[12:13], 0, 0
	s_and_saveexec_b64 s[14:15], s[4:5]
	s_cbranch_execz .LBB33_43
; %bb.40:                               ;   in Loop: Header=BB33_30 Depth=1
	s_mov_b32 s22, 0
	s_mov_b64 s[16:17], 0
	v_pk_mov_b32 v[12:13], 0, 0
	s_mov_b64 s[18:19], 0
.LBB33_41:                              ;   Parent Loop BB33_30 Depth=1
                                        ; =>  This Inner Loop Header: Depth=2
	v_add_u32_e32 v9, s22, v1
	buffer_load_ubyte v9, v9, s[0:3], 0 offen
	v_mov_b32_e32 v15, s20
	s_add_i32 s22, s22, 1
	v_cmp_eq_u32_e64 s[4:5], s22, v8
	s_waitcnt vmcnt(0)
	v_and_b32_e32 v14, 0xffff, v9
	v_lshlrev_b64 v[14:15], s18, v[14:15]
	s_add_u32 s18, s18, 8
	s_addc_u32 s19, s19, 0
	v_or_b32_e32 v13, v15, v13
	s_or_b64 s[16:17], s[4:5], s[16:17]
	v_or_b32_e32 v12, v14, v12
	s_andn2_b64 exec, exec, s[16:17]
	s_cbranch_execnz .LBB33_41
; %bb.42:                               ;   in Loop: Header=BB33_30 Depth=1
	s_or_b64 exec, exec, s[16:17]
.LBB33_43:                              ;   in Loop: Header=BB33_30 Depth=1
	s_or_b64 exec, exec, s[14:15]
	s_mov_b32 s14, 0
                                        ; implicit-def: $vgpr8
.LBB33_44:                              ;   in Loop: Header=BB33_30 Depth=1
	s_or_saveexec_b64 s[4:5], s[6:7]
	v_mov_b32_e32 v9, s14
	s_xor_b64 exec, exec, s[4:5]
	s_cbranch_execz .LBB33_46
; %bb.45:                               ;   in Loop: Header=BB33_30 Depth=1
	buffer_load_dword v12, v1, s[0:3], 0 offen offset:4
	buffer_load_dword v13, v1, s[0:3], 0 offen
	v_add_u32_e32 v9, -8, v8
	v_add_u32_e32 v1, 8, v1
	s_waitcnt vmcnt(1)
	v_and_b32_e32 v8, 0xff, v12
	v_and_b32_e32 v14, 0xff00, v12
	s_waitcnt vmcnt(0)
	v_or3_b32 v13, v13, 0, 0
	v_and_b32_e32 v15, 0xff0000, v12
	v_and_b32_e32 v16, 0xff000000, v12
	v_or3_b32 v8, 0, v8, v14
	v_or3_b32 v12, v13, 0, 0
	;; [unrolled: 1-line block ×3, first 2 shown]
.LBB33_46:                              ;   in Loop: Header=BB33_30 Depth=1
	s_or_b64 exec, exec, s[4:5]
	v_cmp_gt_u32_e64 s[4:5], 8, v9
                                        ; implicit-def: $sgpr14
	s_and_saveexec_b64 s[6:7], s[4:5]
	s_xor_b64 s[6:7], exec, s[6:7]
	s_cbranch_execz .LBB33_52
; %bb.47:                               ;   in Loop: Header=BB33_30 Depth=1
	v_cmp_ne_u32_e64 s[4:5], 0, v9
	v_pk_mov_b32 v[14:15], 0, 0
	s_and_saveexec_b64 s[14:15], s[4:5]
	s_cbranch_execz .LBB33_51
; %bb.48:                               ;   in Loop: Header=BB33_30 Depth=1
	s_mov_b32 s22, 0
	s_mov_b64 s[16:17], 0
	v_pk_mov_b32 v[14:15], 0, 0
	s_mov_b64 s[18:19], 0
.LBB33_49:                              ;   Parent Loop BB33_30 Depth=1
                                        ; =>  This Inner Loop Header: Depth=2
	v_add_u32_e32 v8, s22, v1
	buffer_load_ubyte v8, v8, s[0:3], 0 offen
	v_mov_b32_e32 v17, s20
	s_add_i32 s22, s22, 1
	v_cmp_eq_u32_e64 s[4:5], s22, v9
	s_waitcnt vmcnt(0)
	v_and_b32_e32 v16, 0xffff, v8
	v_lshlrev_b64 v[16:17], s18, v[16:17]
	s_add_u32 s18, s18, 8
	s_addc_u32 s19, s19, 0
	v_or_b32_e32 v15, v17, v15
	s_or_b64 s[16:17], s[4:5], s[16:17]
	v_or_b32_e32 v14, v16, v14
	s_andn2_b64 exec, exec, s[16:17]
	s_cbranch_execnz .LBB33_49
; %bb.50:                               ;   in Loop: Header=BB33_30 Depth=1
	s_or_b64 exec, exec, s[16:17]
.LBB33_51:                              ;   in Loop: Header=BB33_30 Depth=1
	s_or_b64 exec, exec, s[14:15]
	s_mov_b32 s14, 0
                                        ; implicit-def: $vgpr9
.LBB33_52:                              ;   in Loop: Header=BB33_30 Depth=1
	s_or_saveexec_b64 s[4:5], s[6:7]
	v_mov_b32_e32 v8, s14
	s_xor_b64 exec, exec, s[4:5]
	s_cbranch_execz .LBB33_54
; %bb.53:                               ;   in Loop: Header=BB33_30 Depth=1
	buffer_load_dword v14, v1, s[0:3], 0 offen offset:4
	buffer_load_dword v15, v1, s[0:3], 0 offen
	v_add_u32_e32 v8, -8, v9
	v_add_u32_e32 v1, 8, v1
	s_waitcnt vmcnt(1)
	v_and_b32_e32 v9, 0xff, v14
	v_and_b32_e32 v16, 0xff00, v14
	s_waitcnt vmcnt(0)
	v_or3_b32 v15, v15, 0, 0
	v_and_b32_e32 v17, 0xff0000, v14
	v_and_b32_e32 v18, 0xff000000, v14
	v_or3_b32 v9, 0, v9, v16
	v_or3_b32 v14, v15, 0, 0
	;; [unrolled: 1-line block ×3, first 2 shown]
.LBB33_54:                              ;   in Loop: Header=BB33_30 Depth=1
	s_or_b64 exec, exec, s[4:5]
	v_cmp_gt_u32_e64 s[4:5], 8, v8
                                        ; implicit-def: $vgpr16_vgpr17
                                        ; implicit-def: $sgpr14
	s_and_saveexec_b64 s[6:7], s[4:5]
	s_xor_b64 s[6:7], exec, s[6:7]
	s_cbranch_execz .LBB33_60
; %bb.55:                               ;   in Loop: Header=BB33_30 Depth=1
	v_cmp_ne_u32_e64 s[4:5], 0, v8
	v_pk_mov_b32 v[16:17], 0, 0
	s_and_saveexec_b64 s[14:15], s[4:5]
	s_cbranch_execz .LBB33_59
; %bb.56:                               ;   in Loop: Header=BB33_30 Depth=1
	s_mov_b32 s22, 0
	s_mov_b64 s[16:17], 0
	v_pk_mov_b32 v[16:17], 0, 0
	s_mov_b64 s[18:19], 0
.LBB33_57:                              ;   Parent Loop BB33_30 Depth=1
                                        ; =>  This Inner Loop Header: Depth=2
	v_add_u32_e32 v9, s22, v1
	buffer_load_ubyte v9, v9, s[0:3], 0 offen
	v_mov_b32_e32 v19, s20
	s_add_i32 s22, s22, 1
	v_cmp_eq_u32_e64 s[4:5], s22, v8
	s_waitcnt vmcnt(0)
	v_and_b32_e32 v18, 0xffff, v9
	v_lshlrev_b64 v[18:19], s18, v[18:19]
	s_add_u32 s18, s18, 8
	s_addc_u32 s19, s19, 0
	v_or_b32_e32 v17, v19, v17
	s_or_b64 s[16:17], s[4:5], s[16:17]
	v_or_b32_e32 v16, v18, v16
	s_andn2_b64 exec, exec, s[16:17]
	s_cbranch_execnz .LBB33_57
; %bb.58:                               ;   in Loop: Header=BB33_30 Depth=1
	s_or_b64 exec, exec, s[16:17]
.LBB33_59:                              ;   in Loop: Header=BB33_30 Depth=1
	s_or_b64 exec, exec, s[14:15]
	s_mov_b32 s14, 0
                                        ; implicit-def: $vgpr8
.LBB33_60:                              ;   in Loop: Header=BB33_30 Depth=1
	s_or_saveexec_b64 s[4:5], s[6:7]
	v_mov_b32_e32 v9, s14
	s_xor_b64 exec, exec, s[4:5]
	s_cbranch_execz .LBB33_62
; %bb.61:                               ;   in Loop: Header=BB33_30 Depth=1
	buffer_load_dword v16, v1, s[0:3], 0 offen offset:4
	buffer_load_dword v17, v1, s[0:3], 0 offen
	v_add_u32_e32 v9, -8, v8
	v_add_u32_e32 v1, 8, v1
	s_waitcnt vmcnt(1)
	v_and_b32_e32 v8, 0xff, v16
	v_and_b32_e32 v18, 0xff00, v16
	s_waitcnt vmcnt(0)
	v_or3_b32 v17, v17, 0, 0
	v_and_b32_e32 v19, 0xff0000, v16
	v_and_b32_e32 v20, 0xff000000, v16
	v_or3_b32 v8, 0, v8, v18
	v_or3_b32 v16, v17, 0, 0
	;; [unrolled: 1-line block ×3, first 2 shown]
.LBB33_62:                              ;   in Loop: Header=BB33_30 Depth=1
	s_or_b64 exec, exec, s[4:5]
	v_cmp_gt_u32_e64 s[4:5], 8, v9
                                        ; implicit-def: $sgpr14
	s_and_saveexec_b64 s[6:7], s[4:5]
	s_xor_b64 s[6:7], exec, s[6:7]
	s_cbranch_execz .LBB33_68
; %bb.63:                               ;   in Loop: Header=BB33_30 Depth=1
	v_cmp_ne_u32_e64 s[4:5], 0, v9
	v_pk_mov_b32 v[18:19], 0, 0
	s_and_saveexec_b64 s[14:15], s[4:5]
	s_cbranch_execz .LBB33_67
; %bb.64:                               ;   in Loop: Header=BB33_30 Depth=1
	s_mov_b32 s22, 0
	s_mov_b64 s[16:17], 0
	v_pk_mov_b32 v[18:19], 0, 0
	s_mov_b64 s[18:19], 0
.LBB33_65:                              ;   Parent Loop BB33_30 Depth=1
                                        ; =>  This Inner Loop Header: Depth=2
	v_add_u32_e32 v8, s22, v1
	buffer_load_ubyte v8, v8, s[0:3], 0 offen
	v_mov_b32_e32 v21, s20
	s_add_i32 s22, s22, 1
	v_cmp_eq_u32_e64 s[4:5], s22, v9
	s_waitcnt vmcnt(0)
	v_and_b32_e32 v20, 0xffff, v8
	v_lshlrev_b64 v[20:21], s18, v[20:21]
	s_add_u32 s18, s18, 8
	s_addc_u32 s19, s19, 0
	v_or_b32_e32 v19, v21, v19
	s_or_b64 s[16:17], s[4:5], s[16:17]
	v_or_b32_e32 v18, v20, v18
	s_andn2_b64 exec, exec, s[16:17]
	s_cbranch_execnz .LBB33_65
; %bb.66:                               ;   in Loop: Header=BB33_30 Depth=1
	s_or_b64 exec, exec, s[16:17]
.LBB33_67:                              ;   in Loop: Header=BB33_30 Depth=1
	s_or_b64 exec, exec, s[14:15]
	s_mov_b32 s14, 0
                                        ; implicit-def: $vgpr9
.LBB33_68:                              ;   in Loop: Header=BB33_30 Depth=1
	s_or_saveexec_b64 s[4:5], s[6:7]
	v_mov_b32_e32 v8, s14
	s_xor_b64 exec, exec, s[4:5]
	s_cbranch_execz .LBB33_70
; %bb.69:                               ;   in Loop: Header=BB33_30 Depth=1
	buffer_load_dword v18, v1, s[0:3], 0 offen offset:4
	buffer_load_dword v19, v1, s[0:3], 0 offen
	v_add_u32_e32 v8, -8, v9
	v_add_u32_e32 v1, 8, v1
	s_waitcnt vmcnt(1)
	v_and_b32_e32 v9, 0xff, v18
	v_and_b32_e32 v20, 0xff00, v18
	s_waitcnt vmcnt(0)
	v_or3_b32 v19, v19, 0, 0
	v_and_b32_e32 v21, 0xff0000, v18
	v_and_b32_e32 v22, 0xff000000, v18
	v_or3_b32 v9, 0, v9, v20
	v_or3_b32 v18, v19, 0, 0
	;; [unrolled: 1-line block ×3, first 2 shown]
.LBB33_70:                              ;   in Loop: Header=BB33_30 Depth=1
	s_or_b64 exec, exec, s[4:5]
	v_cmp_gt_u32_e64 s[4:5], 8, v8
                                        ; implicit-def: $vgpr20_vgpr21
                                        ; implicit-def: $sgpr14
	s_and_saveexec_b64 s[6:7], s[4:5]
	s_xor_b64 s[6:7], exec, s[6:7]
	s_cbranch_execz .LBB33_76
; %bb.71:                               ;   in Loop: Header=BB33_30 Depth=1
	v_cmp_ne_u32_e64 s[4:5], 0, v8
	v_pk_mov_b32 v[20:21], 0, 0
	s_and_saveexec_b64 s[14:15], s[4:5]
	s_cbranch_execz .LBB33_75
; %bb.72:                               ;   in Loop: Header=BB33_30 Depth=1
	s_mov_b32 s22, 0
	s_mov_b64 s[16:17], 0
	v_pk_mov_b32 v[20:21], 0, 0
	s_mov_b64 s[18:19], 0
.LBB33_73:                              ;   Parent Loop BB33_30 Depth=1
                                        ; =>  This Inner Loop Header: Depth=2
	v_add_u32_e32 v9, s22, v1
	buffer_load_ubyte v9, v9, s[0:3], 0 offen
	v_mov_b32_e32 v23, s20
	s_add_i32 s22, s22, 1
	v_cmp_eq_u32_e64 s[4:5], s22, v8
	s_waitcnt vmcnt(0)
	v_and_b32_e32 v22, 0xffff, v9
	v_lshlrev_b64 v[22:23], s18, v[22:23]
	s_add_u32 s18, s18, 8
	s_addc_u32 s19, s19, 0
	v_or_b32_e32 v21, v23, v21
	s_or_b64 s[16:17], s[4:5], s[16:17]
	v_or_b32_e32 v20, v22, v20
	s_andn2_b64 exec, exec, s[16:17]
	s_cbranch_execnz .LBB33_73
; %bb.74:                               ;   in Loop: Header=BB33_30 Depth=1
	s_or_b64 exec, exec, s[16:17]
.LBB33_75:                              ;   in Loop: Header=BB33_30 Depth=1
	s_or_b64 exec, exec, s[14:15]
	s_mov_b32 s14, 0
                                        ; implicit-def: $vgpr8
.LBB33_76:                              ;   in Loop: Header=BB33_30 Depth=1
	s_or_saveexec_b64 s[4:5], s[6:7]
	v_mov_b32_e32 v9, s14
	s_xor_b64 exec, exec, s[4:5]
	s_cbranch_execz .LBB33_78
; %bb.77:                               ;   in Loop: Header=BB33_30 Depth=1
	buffer_load_dword v20, v1, s[0:3], 0 offen offset:4
	buffer_load_dword v21, v1, s[0:3], 0 offen
	v_add_u32_e32 v9, -8, v8
	v_add_u32_e32 v1, 8, v1
	s_waitcnt vmcnt(1)
	v_and_b32_e32 v8, 0xff, v20
	v_and_b32_e32 v22, 0xff00, v20
	s_waitcnt vmcnt(0)
	v_or3_b32 v21, v21, 0, 0
	v_and_b32_e32 v23, 0xff0000, v20
	v_and_b32_e32 v24, 0xff000000, v20
	v_or3_b32 v8, 0, v8, v22
	v_or3_b32 v20, v21, 0, 0
	;; [unrolled: 1-line block ×3, first 2 shown]
.LBB33_78:                              ;   in Loop: Header=BB33_30 Depth=1
	s_or_b64 exec, exec, s[4:5]
	v_cmp_gt_u32_e64 s[4:5], 8, v9
	s_and_saveexec_b64 s[6:7], s[4:5]
	s_xor_b64 s[6:7], exec, s[6:7]
	s_cbranch_execz .LBB33_84
; %bb.79:                               ;   in Loop: Header=BB33_30 Depth=1
	v_cmp_ne_u32_e64 s[4:5], 0, v9
	v_pk_mov_b32 v[22:23], 0, 0
	s_and_saveexec_b64 s[14:15], s[4:5]
	s_cbranch_execz .LBB33_83
; %bb.80:                               ;   in Loop: Header=BB33_30 Depth=1
	s_mov_b64 s[16:17], 0
	v_pk_mov_b32 v[22:23], 0, 0
	s_mov_b64 s[18:19], 0
.LBB33_81:                              ;   Parent Loop BB33_30 Depth=1
                                        ; =>  This Inner Loop Header: Depth=2
	buffer_load_ubyte v8, v1, s[0:3], 0 offen
	v_mov_b32_e32 v25, s20
	v_add_u32_e32 v9, -1, v9
	v_cmp_eq_u32_e64 s[4:5], 0, v9
	v_add_u32_e32 v1, 1, v1
	s_waitcnt vmcnt(0)
	v_and_b32_e32 v24, 0xffff, v8
	v_lshlrev_b64 v[24:25], s18, v[24:25]
	s_add_u32 s18, s18, 8
	s_addc_u32 s19, s19, 0
	v_or_b32_e32 v23, v25, v23
	s_or_b64 s[16:17], s[4:5], s[16:17]
	v_or_b32_e32 v22, v24, v22
	s_andn2_b64 exec, exec, s[16:17]
	s_cbranch_execnz .LBB33_81
; %bb.82:                               ;   in Loop: Header=BB33_30 Depth=1
	s_or_b64 exec, exec, s[16:17]
.LBB33_83:                              ;   in Loop: Header=BB33_30 Depth=1
	s_or_b64 exec, exec, s[14:15]
                                        ; implicit-def: $vgpr1
.LBB33_84:                              ;   in Loop: Header=BB33_30 Depth=1
	s_andn2_saveexec_b64 s[4:5], s[6:7]
	s_cbranch_execz .LBB33_86
; %bb.85:                               ;   in Loop: Header=BB33_30 Depth=1
	buffer_load_dword v8, v1, s[0:3], 0 offen offset:4
	buffer_load_dword v9, v1, s[0:3], 0 offen
	s_waitcnt vmcnt(1)
	v_and_b32_e32 v1, 0xff, v8
	v_and_b32_e32 v22, 0xff00, v8
	s_waitcnt vmcnt(0)
	v_or3_b32 v9, v9, 0, 0
	v_and_b32_e32 v23, 0xff0000, v8
	v_and_b32_e32 v8, 0xff000000, v8
	v_or3_b32 v1, 0, v1, v22
	v_or3_b32 v23, v1, v23, v8
	;; [unrolled: 1-line block ×3, first 2 shown]
.LBB33_86:                              ;   in Loop: Header=BB33_30 Depth=1
	s_or_b64 exec, exec, s[4:5]
	v_readfirstlane_b32 s4, v39
	v_cmp_eq_u32_e64 s[4:5], s4, v39
	v_pk_mov_b32 v[8:9], 0, 0
	s_and_saveexec_b64 s[14:15], s[4:5]
	s_cbranch_execz .LBB33_92
; %bb.87:                               ;   in Loop: Header=BB33_30 Depth=1
	global_load_dwordx2 v[26:27], v35, s[10:11] offset:24 glc
	s_waitcnt vmcnt(0)
	buffer_invl2
	buffer_wbinvl1_vol
	global_load_dwordx2 v[8:9], v35, s[10:11] offset:40
	global_load_dwordx2 v[24:25], v35, s[10:11]
	s_waitcnt vmcnt(1)
	v_and_b32_e32 v1, v8, v26
	v_and_b32_e32 v8, v9, v27
	v_mul_lo_u32 v8, v8, 24
	v_mul_hi_u32 v9, v1, 24
	v_mul_lo_u32 v1, v1, 24
	v_add_u32_e32 v9, v9, v8
	s_waitcnt vmcnt(0)
	v_add_co_u32_e64 v8, s[6:7], v24, v1
	v_addc_co_u32_e64 v9, s[6:7], v25, v9, s[6:7]
	global_load_dwordx2 v[24:25], v[8:9], off glc
	s_waitcnt vmcnt(0)
	global_atomic_cmpswap_x2 v[8:9], v35, v[24:27], s[10:11] offset:24 glc
	s_waitcnt vmcnt(0)
	buffer_invl2
	buffer_wbinvl1_vol
	v_cmp_ne_u64_e64 s[6:7], v[8:9], v[26:27]
	s_and_saveexec_b64 s[16:17], s[6:7]
	s_cbranch_execz .LBB33_91
; %bb.88:                               ;   in Loop: Header=BB33_30 Depth=1
	s_mov_b64 s[18:19], 0
.LBB33_89:                              ;   Parent Loop BB33_30 Depth=1
                                        ; =>  This Inner Loop Header: Depth=2
	s_sleep 1
	global_load_dwordx2 v[24:25], v35, s[10:11] offset:40
	global_load_dwordx2 v[36:37], v35, s[10:11]
	v_pk_mov_b32 v[26:27], v[8:9], v[8:9] op_sel:[0,1]
	s_waitcnt vmcnt(1)
	v_and_b32_e32 v8, v24, v26
	s_waitcnt vmcnt(0)
	v_mad_u64_u32 v[8:9], s[6:7], v8, 24, v[36:37]
	v_and_b32_e32 v1, v25, v27
	v_mov_b32_e32 v24, v9
	v_mad_u64_u32 v[24:25], s[6:7], v1, 24, v[24:25]
	v_mov_b32_e32 v9, v24
	global_load_dwordx2 v[24:25], v[8:9], off glc
	s_waitcnt vmcnt(0)
	global_atomic_cmpswap_x2 v[8:9], v35, v[24:27], s[10:11] offset:24 glc
	s_waitcnt vmcnt(0)
	buffer_invl2
	buffer_wbinvl1_vol
	v_cmp_eq_u64_e64 s[6:7], v[8:9], v[26:27]
	s_or_b64 s[18:19], s[6:7], s[18:19]
	s_andn2_b64 exec, exec, s[18:19]
	s_cbranch_execnz .LBB33_89
; %bb.90:                               ;   in Loop: Header=BB33_30 Depth=1
	s_or_b64 exec, exec, s[18:19]
.LBB33_91:                              ;   in Loop: Header=BB33_30 Depth=1
	s_or_b64 exec, exec, s[16:17]
.LBB33_92:                              ;   in Loop: Header=BB33_30 Depth=1
	s_or_b64 exec, exec, s[14:15]
	global_load_dwordx2 v[36:37], v35, s[10:11] offset:40
	global_load_dwordx4 v[24:27], v35, s[10:11]
	v_readfirstlane_b32 s14, v8
	v_readfirstlane_b32 s15, v9
	s_mov_b64 s[16:17], exec
	s_waitcnt vmcnt(1)
	v_readfirstlane_b32 s6, v36
	v_readfirstlane_b32 s7, v37
	s_and_b64 s[18:19], s[14:15], s[6:7]
	s_mul_i32 s6, s19, 24
	s_mul_hi_u32 s7, s18, 24
	s_mul_i32 s22, s18, 24
	s_add_i32 s6, s7, s6
	v_mov_b32_e32 v1, s6
	s_waitcnt vmcnt(0)
	v_add_co_u32_e64 v36, s[6:7], s22, v24
	v_addc_co_u32_e64 v37, s[6:7], v25, v1, s[6:7]
	s_and_saveexec_b64 s[6:7], s[4:5]
	s_cbranch_execz .LBB33_94
; %bb.93:                               ;   in Loop: Header=BB33_30 Depth=1
	v_pk_mov_b32 v[8:9], s[16:17], s[16:17] op_sel:[0,1]
	global_store_dwordx4 v[36:37], v[8:11], off offset:8
.LBB33_94:                              ;   in Loop: Header=BB33_30 Depth=1
	s_or_b64 exec, exec, s[6:7]
	s_lshl_b64 s[6:7], s[18:19], 12
	v_cndmask_b32_e32 v9, 0, v29, vcc
	v_mov_b32_e32 v1, s7
	v_add_co_u32_e32 v8, vcc, s6, v26
	v_addc_co_u32_e32 v1, vcc, v27, v1, vcc
	v_or_b32_e32 v26, 0, v3
	v_cmp_lt_u64_e32 vcc, 56, v[28:29]
	v_or_b32_e32 v27, v2, v32
	v_cndmask_b32_e32 v3, v26, v3, vcc
	v_lshl_add_u32 v26, v48, 2, 28
	v_cndmask_b32_e32 v2, v27, v2, vcc
	v_and_b32_e32 v26, 0x1e0, v26
	v_and_or_b32 v2, v2, s21, v26
	v_readfirstlane_b32 s6, v8
	v_readfirstlane_b32 s7, v1
	s_nop 4
	global_store_dwordx4 v38, v[2:5], s[6:7]
	global_store_dwordx4 v38, v[12:15], s[6:7] offset:16
	global_store_dwordx4 v38, v[16:19], s[6:7] offset:32
	global_store_dwordx4 v38, v[20:23], s[6:7] offset:48
	s_and_saveexec_b64 s[6:7], s[4:5]
	s_cbranch_execz .LBB33_102
; %bb.95:                               ;   in Loop: Header=BB33_30 Depth=1
	global_load_dwordx2 v[16:17], v35, s[10:11] offset:32 glc
	global_load_dwordx2 v[2:3], v35, s[10:11] offset:40
	v_mov_b32_e32 v14, s14
	v_mov_b32_e32 v15, s15
	s_waitcnt vmcnt(0)
	v_readfirstlane_b32 s16, v2
	v_readfirstlane_b32 s17, v3
	s_and_b64 s[16:17], s[16:17], s[14:15]
	s_mul_i32 s17, s17, 24
	s_mul_hi_u32 s18, s16, 24
	s_mul_i32 s16, s16, 24
	s_add_i32 s17, s18, s17
	v_mov_b32_e32 v2, s17
	v_add_co_u32_e32 v12, vcc, s16, v24
	v_addc_co_u32_e32 v13, vcc, v25, v2, vcc
	global_store_dwordx2 v[12:13], v[16:17], off
	buffer_wbl2
	s_waitcnt vmcnt(0)
	global_atomic_cmpswap_x2 v[4:5], v35, v[14:17], s[10:11] offset:32 glc
	s_waitcnt vmcnt(0)
	v_cmp_ne_u64_e32 vcc, v[4:5], v[16:17]
	s_and_saveexec_b64 s[16:17], vcc
	s_cbranch_execz .LBB33_98
; %bb.96:                               ;   in Loop: Header=BB33_30 Depth=1
	s_mov_b64 s[18:19], 0
.LBB33_97:                              ;   Parent Loop BB33_30 Depth=1
                                        ; =>  This Inner Loop Header: Depth=2
	s_sleep 1
	global_store_dwordx2 v[12:13], v[4:5], off
	v_mov_b32_e32 v2, s14
	v_mov_b32_e32 v3, s15
	buffer_wbl2
	s_waitcnt vmcnt(0)
	global_atomic_cmpswap_x2 v[2:3], v35, v[2:5], s[10:11] offset:32 glc
	s_waitcnt vmcnt(0)
	v_cmp_eq_u64_e32 vcc, v[2:3], v[4:5]
	s_or_b64 s[18:19], vcc, s[18:19]
	v_pk_mov_b32 v[4:5], v[2:3], v[2:3] op_sel:[0,1]
	s_andn2_b64 exec, exec, s[18:19]
	s_cbranch_execnz .LBB33_97
.LBB33_98:                              ;   in Loop: Header=BB33_30 Depth=1
	s_or_b64 exec, exec, s[16:17]
	global_load_dwordx2 v[2:3], v35, s[10:11] offset:16
	s_mov_b64 s[18:19], exec
	v_mbcnt_lo_u32_b32 v4, s18, 0
	v_mbcnt_hi_u32_b32 v4, s19, v4
	v_cmp_eq_u32_e32 vcc, 0, v4
	s_and_saveexec_b64 s[16:17], vcc
	s_cbranch_execz .LBB33_100
; %bb.99:                               ;   in Loop: Header=BB33_30 Depth=1
	s_bcnt1_i32_b64 s18, s[18:19]
	v_mov_b32_e32 v34, s18
	buffer_wbl2
	s_waitcnt vmcnt(0)
	global_atomic_add_x2 v[2:3], v[34:35], off offset:8
.LBB33_100:                             ;   in Loop: Header=BB33_30 Depth=1
	s_or_b64 exec, exec, s[16:17]
	s_waitcnt vmcnt(0)
	global_load_dwordx2 v[4:5], v[2:3], off offset:16
	s_waitcnt vmcnt(0)
	v_cmp_eq_u64_e32 vcc, 0, v[4:5]
	s_cbranch_vccnz .LBB33_102
; %bb.101:                              ;   in Loop: Header=BB33_30 Depth=1
	global_load_dword v34, v[2:3], off offset:24
	s_waitcnt vmcnt(0)
	v_and_b32_e32 v2, 0xffffff, v34
	v_readfirstlane_b32 m0, v2
	buffer_wbl2
	global_store_dwordx2 v[4:5], v[34:35], off
	s_sendmsg sendmsg(MSG_INTERRUPT)
.LBB33_102:                             ;   in Loop: Header=BB33_30 Depth=1
	s_or_b64 exec, exec, s[6:7]
	v_add_co_u32_e32 v2, vcc, v8, v38
	v_addc_co_u32_e32 v3, vcc, 0, v1, vcc
	s_branch .LBB33_106
.LBB33_103:                             ;   in Loop: Header=BB33_106 Depth=2
	s_or_b64 exec, exec, s[6:7]
	v_readfirstlane_b32 s6, v1
	s_cmp_eq_u32 s6, 0
	s_cbranch_scc1 .LBB33_105
; %bb.104:                              ;   in Loop: Header=BB33_106 Depth=2
	s_sleep 1
	s_cbranch_execnz .LBB33_106
	s_branch .LBB33_108
.LBB33_105:                             ;   in Loop: Header=BB33_30 Depth=1
	s_branch .LBB33_108
.LBB33_106:                             ;   Parent Loop BB33_30 Depth=1
                                        ; =>  This Inner Loop Header: Depth=2
	v_mov_b32_e32 v1, 1
	s_and_saveexec_b64 s[6:7], s[4:5]
	s_cbranch_execz .LBB33_103
; %bb.107:                              ;   in Loop: Header=BB33_106 Depth=2
	global_load_dword v1, v[36:37], off offset:20 glc
	s_waitcnt vmcnt(0)
	buffer_invl2
	buffer_wbinvl1_vol
	v_and_b32_e32 v1, 1, v1
	s_branch .LBB33_103
.LBB33_108:                             ;   in Loop: Header=BB33_30 Depth=1
	global_load_dwordx4 v[2:5], v[2:3], off
	s_and_saveexec_b64 s[6:7], s[4:5]
	s_cbranch_execz .LBB33_29
; %bb.109:                              ;   in Loop: Header=BB33_30 Depth=1
	global_load_dwordx2 v[4:5], v35, s[10:11] offset:40
	global_load_dwordx2 v[16:17], v35, s[10:11] offset:24 glc
	global_load_dwordx2 v[18:19], v35, s[10:11]
	v_mov_b32_e32 v1, s15
	s_waitcnt vmcnt(2)
	v_add_co_u32_e32 v8, vcc, 1, v4
	v_addc_co_u32_e32 v15, vcc, 0, v5, vcc
	v_add_co_u32_e32 v12, vcc, s14, v8
	v_addc_co_u32_e32 v13, vcc, v15, v1, vcc
	v_cmp_eq_u64_e32 vcc, 0, v[12:13]
	v_cndmask_b32_e32 v13, v13, v15, vcc
	v_cndmask_b32_e32 v12, v12, v8, vcc
	v_and_b32_e32 v1, v13, v5
	v_and_b32_e32 v4, v12, v4
	v_mul_lo_u32 v1, v1, 24
	v_mul_hi_u32 v5, v4, 24
	v_mul_lo_u32 v4, v4, 24
	v_add_u32_e32 v1, v5, v1
	s_waitcnt vmcnt(0)
	v_add_co_u32_e32 v4, vcc, v18, v4
	v_addc_co_u32_e32 v5, vcc, v19, v1, vcc
	v_mov_b32_e32 v14, v16
	global_store_dwordx2 v[4:5], v[16:17], off
	v_mov_b32_e32 v15, v17
	buffer_wbl2
	s_waitcnt vmcnt(0)
	global_atomic_cmpswap_x2 v[14:15], v35, v[12:15], s[10:11] offset:24 glc
	s_waitcnt vmcnt(0)
	v_cmp_ne_u64_e32 vcc, v[14:15], v[16:17]
	s_and_b64 exec, exec, vcc
	s_cbranch_execz .LBB33_29
; %bb.110:                              ;   in Loop: Header=BB33_30 Depth=1
	s_mov_b64 s[4:5], 0
.LBB33_111:                             ;   Parent Loop BB33_30 Depth=1
                                        ; =>  This Inner Loop Header: Depth=2
	s_sleep 1
	global_store_dwordx2 v[4:5], v[14:15], off
	buffer_wbl2
	s_waitcnt vmcnt(0)
	global_atomic_cmpswap_x2 v[16:17], v35, v[12:15], s[10:11] offset:24 glc
	s_waitcnt vmcnt(0)
	v_cmp_eq_u64_e32 vcc, v[16:17], v[14:15]
	s_or_b64 s[4:5], vcc, s[4:5]
	v_pk_mov_b32 v[14:15], v[16:17], v[16:17] op_sel:[0,1]
	s_andn2_b64 exec, exec, s[4:5]
	s_cbranch_execnz .LBB33_111
	s_branch .LBB33_29
.LBB33_112:
                                        ; implicit-def: $vgpr2_vgpr3
	s_cbranch_execnz .LBB33_114
	s_branch .LBB33_140
.LBB33_113:
	s_or_b64 exec, exec, s[12:13]
	s_branch .LBB33_140
.LBB33_114:
	v_readfirstlane_b32 s4, v39
	v_cmp_eq_u32_e64 s[4:5], s4, v39
	v_pk_mov_b32 v[10:11], 0, 0
	s_and_saveexec_b64 s[6:7], s[4:5]
	s_cbranch_execz .LBB33_120
; %bb.115:
	v_mov_b32_e32 v1, 0
	global_load_dwordx2 v[4:5], v1, s[10:11] offset:24 glc
	s_waitcnt vmcnt(0)
	buffer_invl2
	buffer_wbinvl1_vol
	global_load_dwordx2 v[2:3], v1, s[10:11] offset:40
	global_load_dwordx2 v[8:9], v1, s[10:11]
	s_waitcnt vmcnt(1)
	v_and_b32_e32 v2, v2, v4
	v_and_b32_e32 v3, v3, v5
	v_mul_lo_u32 v3, v3, 24
	v_mul_hi_u32 v10, v2, 24
	v_mul_lo_u32 v2, v2, 24
	v_add_u32_e32 v3, v10, v3
	s_waitcnt vmcnt(0)
	v_add_co_u32_e32 v2, vcc, v8, v2
	v_addc_co_u32_e32 v3, vcc, v9, v3, vcc
	global_load_dwordx2 v[2:3], v[2:3], off glc
	s_waitcnt vmcnt(0)
	global_atomic_cmpswap_x2 v[10:11], v1, v[2:5], s[10:11] offset:24 glc
	s_waitcnt vmcnt(0)
	buffer_invl2
	buffer_wbinvl1_vol
	v_cmp_ne_u64_e32 vcc, v[10:11], v[4:5]
	s_and_saveexec_b64 s[12:13], vcc
	s_cbranch_execz .LBB33_119
; %bb.116:
	s_mov_b64 s[14:15], 0
.LBB33_117:                             ; =>This Inner Loop Header: Depth=1
	s_sleep 1
	global_load_dwordx2 v[2:3], v1, s[10:11] offset:40
	global_load_dwordx2 v[8:9], v1, s[10:11]
	v_pk_mov_b32 v[4:5], v[10:11], v[10:11] op_sel:[0,1]
	s_waitcnt vmcnt(1)
	v_and_b32_e32 v2, v2, v4
	v_and_b32_e32 v10, v3, v5
	s_waitcnt vmcnt(0)
	v_mad_u64_u32 v[2:3], s[16:17], v2, 24, v[8:9]
	v_mov_b32_e32 v8, v3
	v_mad_u64_u32 v[8:9], s[16:17], v10, 24, v[8:9]
	v_mov_b32_e32 v3, v8
	global_load_dwordx2 v[2:3], v[2:3], off glc
	s_waitcnt vmcnt(0)
	global_atomic_cmpswap_x2 v[10:11], v1, v[2:5], s[10:11] offset:24 glc
	s_waitcnt vmcnt(0)
	buffer_invl2
	buffer_wbinvl1_vol
	v_cmp_eq_u64_e32 vcc, v[10:11], v[4:5]
	s_or_b64 s[14:15], vcc, s[14:15]
	s_andn2_b64 exec, exec, s[14:15]
	s_cbranch_execnz .LBB33_117
; %bb.118:
	s_or_b64 exec, exec, s[14:15]
.LBB33_119:
	s_or_b64 exec, exec, s[12:13]
.LBB33_120:
	s_or_b64 exec, exec, s[6:7]
	v_mov_b32_e32 v8, 0
	global_load_dwordx2 v[12:13], v8, s[10:11] offset:40
	global_load_dwordx4 v[2:5], v8, s[10:11]
	v_readfirstlane_b32 s6, v10
	v_readfirstlane_b32 s7, v11
	s_mov_b64 s[12:13], exec
	s_waitcnt vmcnt(1)
	v_readfirstlane_b32 s14, v12
	v_readfirstlane_b32 s15, v13
	s_and_b64 s[14:15], s[6:7], s[14:15]
	s_mul_i32 s16, s15, 24
	s_mul_hi_u32 s17, s14, 24
	s_mul_i32 s18, s14, 24
	s_add_i32 s16, s17, s16
	v_mov_b32_e32 v1, s16
	s_waitcnt vmcnt(0)
	v_add_co_u32_e32 v10, vcc, s18, v2
	v_addc_co_u32_e32 v11, vcc, v3, v1, vcc
	s_and_saveexec_b64 s[16:17], s[4:5]
	s_cbranch_execz .LBB33_122
; %bb.121:
	v_pk_mov_b32 v[12:13], s[12:13], s[12:13] op_sel:[0,1]
	v_mov_b32_e32 v14, 2
	v_mov_b32_e32 v15, 1
	global_store_dwordx4 v[10:11], v[12:15], off offset:8
.LBB33_122:
	s_or_b64 exec, exec, s[16:17]
	s_lshl_b64 s[12:13], s[14:15], 12
	v_mov_b32_e32 v1, s13
	v_add_co_u32_e32 v4, vcc, s12, v4
	s_movk_i32 s12, 0xff1f
	v_addc_co_u32_e32 v1, vcc, v5, v1, vcc
	v_and_or_b32 v6, v6, s12, 32
	s_mov_b32 s12, 0
	v_mov_b32_e32 v9, v8
	v_readfirstlane_b32 s16, v4
	v_readfirstlane_b32 s17, v1
	s_mov_b32 s13, s12
	v_add_co_u32_e32 v12, vcc, v4, v38
	s_mov_b32 s14, s12
	s_mov_b32 s15, s12
	s_nop 0
	global_store_dwordx4 v38, v[6:9], s[16:17]
	v_pk_mov_b32 v[4:5], s[12:13], s[12:13] op_sel:[0,1]
	v_addc_co_u32_e32 v13, vcc, 0, v1, vcc
	v_pk_mov_b32 v[6:7], s[14:15], s[14:15] op_sel:[0,1]
	global_store_dwordx4 v38, v[4:7], s[16:17] offset:16
	global_store_dwordx4 v38, v[4:7], s[16:17] offset:32
	;; [unrolled: 1-line block ×3, first 2 shown]
	s_and_saveexec_b64 s[12:13], s[4:5]
	s_cbranch_execz .LBB33_130
; %bb.123:
	v_mov_b32_e32 v1, 0
	global_load_dwordx2 v[16:17], v1, s[10:11] offset:32 glc
	global_load_dwordx2 v[4:5], v1, s[10:11] offset:40
	v_mov_b32_e32 v14, s6
	v_mov_b32_e32 v15, s7
	s_waitcnt vmcnt(0)
	v_readfirstlane_b32 s14, v4
	v_readfirstlane_b32 s15, v5
	s_and_b64 s[14:15], s[14:15], s[6:7]
	s_mul_i32 s15, s15, 24
	s_mul_hi_u32 s16, s14, 24
	s_mul_i32 s14, s14, 24
	s_add_i32 s15, s16, s15
	v_mov_b32_e32 v4, s15
	v_add_co_u32_e32 v6, vcc, s14, v2
	v_addc_co_u32_e32 v7, vcc, v3, v4, vcc
	global_store_dwordx2 v[6:7], v[16:17], off
	buffer_wbl2
	s_waitcnt vmcnt(0)
	global_atomic_cmpswap_x2 v[4:5], v1, v[14:17], s[10:11] offset:32 glc
	s_waitcnt vmcnt(0)
	v_cmp_ne_u64_e32 vcc, v[4:5], v[16:17]
	s_and_saveexec_b64 s[14:15], vcc
	s_cbranch_execz .LBB33_126
; %bb.124:
	s_mov_b64 s[16:17], 0
.LBB33_125:                             ; =>This Inner Loop Header: Depth=1
	s_sleep 1
	global_store_dwordx2 v[6:7], v[4:5], off
	v_mov_b32_e32 v2, s6
	v_mov_b32_e32 v3, s7
	buffer_wbl2
	s_waitcnt vmcnt(0)
	global_atomic_cmpswap_x2 v[2:3], v1, v[2:5], s[10:11] offset:32 glc
	s_waitcnt vmcnt(0)
	v_cmp_eq_u64_e32 vcc, v[2:3], v[4:5]
	s_or_b64 s[16:17], vcc, s[16:17]
	v_pk_mov_b32 v[4:5], v[2:3], v[2:3] op_sel:[0,1]
	s_andn2_b64 exec, exec, s[16:17]
	s_cbranch_execnz .LBB33_125
.LBB33_126:
	s_or_b64 exec, exec, s[14:15]
	v_mov_b32_e32 v5, 0
	global_load_dwordx2 v[2:3], v5, s[10:11] offset:16
	s_mov_b64 s[14:15], exec
	v_mbcnt_lo_u32_b32 v1, s14, 0
	v_mbcnt_hi_u32_b32 v1, s15, v1
	v_cmp_eq_u32_e32 vcc, 0, v1
	s_and_saveexec_b64 s[16:17], vcc
	s_cbranch_execz .LBB33_128
; %bb.127:
	s_bcnt1_i32_b64 s14, s[14:15]
	v_mov_b32_e32 v4, s14
	buffer_wbl2
	s_waitcnt vmcnt(0)
	global_atomic_add_x2 v[2:3], v[4:5], off offset:8
.LBB33_128:
	s_or_b64 exec, exec, s[16:17]
	s_waitcnt vmcnt(0)
	global_load_dwordx2 v[4:5], v[2:3], off offset:16
	s_waitcnt vmcnt(0)
	v_cmp_eq_u64_e32 vcc, 0, v[4:5]
	s_cbranch_vccnz .LBB33_130
; %bb.129:
	global_load_dword v2, v[2:3], off offset:24
	v_mov_b32_e32 v3, 0
	s_waitcnt vmcnt(0)
	v_and_b32_e32 v1, 0xffffff, v2
	v_readfirstlane_b32 m0, v1
	buffer_wbl2
	global_store_dwordx2 v[4:5], v[2:3], off
	s_sendmsg sendmsg(MSG_INTERRUPT)
.LBB33_130:
	s_or_b64 exec, exec, s[12:13]
	s_branch .LBB33_134
.LBB33_131:                             ;   in Loop: Header=BB33_134 Depth=1
	s_or_b64 exec, exec, s[12:13]
	v_readfirstlane_b32 s12, v1
	s_cmp_eq_u32 s12, 0
	s_cbranch_scc1 .LBB33_133
; %bb.132:                              ;   in Loop: Header=BB33_134 Depth=1
	s_sleep 1
	s_cbranch_execnz .LBB33_134
	s_branch .LBB33_136
.LBB33_133:
	s_branch .LBB33_136
.LBB33_134:                             ; =>This Inner Loop Header: Depth=1
	v_mov_b32_e32 v1, 1
	s_and_saveexec_b64 s[12:13], s[4:5]
	s_cbranch_execz .LBB33_131
; %bb.135:                              ;   in Loop: Header=BB33_134 Depth=1
	global_load_dword v1, v[10:11], off offset:20 glc
	s_waitcnt vmcnt(0)
	buffer_invl2
	buffer_wbinvl1_vol
	v_and_b32_e32 v1, 1, v1
	s_branch .LBB33_131
.LBB33_136:
	global_load_dwordx2 v[2:3], v[12:13], off
	s_and_saveexec_b64 s[12:13], s[4:5]
	s_cbranch_execz .LBB33_139
; %bb.137:
	v_mov_b32_e32 v1, 0
	global_load_dwordx2 v[8:9], v1, s[10:11] offset:40
	global_load_dwordx2 v[10:11], v1, s[10:11] offset:24 glc
	global_load_dwordx2 v[12:13], v1, s[10:11]
	v_mov_b32_e32 v5, s7
	s_mov_b64 s[4:5], 0
	s_waitcnt vmcnt(2)
	v_add_co_u32_e32 v7, vcc, 1, v8
	v_addc_co_u32_e32 v14, vcc, 0, v9, vcc
	v_add_co_u32_e32 v4, vcc, s6, v7
	v_addc_co_u32_e32 v5, vcc, v14, v5, vcc
	v_cmp_eq_u64_e32 vcc, 0, v[4:5]
	v_cndmask_b32_e32 v5, v5, v14, vcc
	v_cndmask_b32_e32 v4, v4, v7, vcc
	v_and_b32_e32 v7, v5, v9
	v_and_b32_e32 v8, v4, v8
	v_mul_lo_u32 v7, v7, 24
	v_mul_hi_u32 v9, v8, 24
	v_mul_lo_u32 v8, v8, 24
	v_add_u32_e32 v7, v9, v7
	s_waitcnt vmcnt(0)
	v_add_co_u32_e32 v8, vcc, v12, v8
	v_addc_co_u32_e32 v9, vcc, v13, v7, vcc
	v_mov_b32_e32 v6, v10
	global_store_dwordx2 v[8:9], v[10:11], off
	v_mov_b32_e32 v7, v11
	buffer_wbl2
	s_waitcnt vmcnt(0)
	global_atomic_cmpswap_x2 v[6:7], v1, v[4:7], s[10:11] offset:24 glc
	s_waitcnt vmcnt(0)
	v_cmp_ne_u64_e32 vcc, v[6:7], v[10:11]
	s_and_b64 exec, exec, vcc
	s_cbranch_execz .LBB33_139
.LBB33_138:                             ; =>This Inner Loop Header: Depth=1
	s_sleep 1
	global_store_dwordx2 v[8:9], v[6:7], off
	buffer_wbl2
	s_waitcnt vmcnt(0)
	global_atomic_cmpswap_x2 v[10:11], v1, v[4:7], s[10:11] offset:24 glc
	s_waitcnt vmcnt(0)
	v_cmp_eq_u64_e32 vcc, v[10:11], v[6:7]
	s_or_b64 s[4:5], vcc, s[4:5]
	v_pk_mov_b32 v[6:7], v[10:11], v[10:11] op_sel:[0,1]
	s_andn2_b64 exec, exec, s[4:5]
	s_cbranch_execnz .LBB33_138
.LBB33_139:
	s_or_b64 exec, exec, s[12:13]
.LBB33_140:
	s_getpc_b64 s[6:7]
	s_add_u32 s6, s6, .str.2@rel32@lo+4
	s_addc_u32 s7, s7, .str.2@rel32@hi+12
	s_cmp_lg_u64 s[6:7], 0
	s_cbranch_scc0 .LBB33_224
; %bb.141:
	s_getpc_b64 s[4:5]
	s_add_u32 s4, s4, .str.2@rel32@lo+74
	s_addc_u32 s5, s5, .str.2@rel32@hi+82
	s_sub_i32 s12, s4, s6
	s_ashr_i32 s13, s12, 31
	s_waitcnt vmcnt(0)
	v_and_b32_e32 v32, 2, v2
	v_mov_b32_e32 v35, 0
	v_and_b32_e32 v4, -3, v2
	v_mov_b32_e32 v5, v3
	v_mov_b32_e32 v8, 2
	;; [unrolled: 1-line block ×3, first 2 shown]
	s_branch .LBB33_143
.LBB33_142:                             ;   in Loop: Header=BB33_143 Depth=1
	s_or_b64 exec, exec, s[18:19]
	s_sub_u32 s12, s12, s14
	s_subb_u32 s13, s13, s15
	s_add_u32 s6, s6, s14
	s_addc_u32 s7, s7, s15
	s_cmp_lg_u64 s[12:13], 0
	s_cbranch_scc0 .LBB33_225
.LBB33_143:                             ; =>This Loop Header: Depth=1
                                        ;     Child Loop BB33_146 Depth 2
                                        ;     Child Loop BB33_153 Depth 2
	;; [unrolled: 1-line block ×11, first 2 shown]
	v_cmp_lt_u64_e64 s[4:5], s[12:13], 56
	s_and_b64 s[4:5], s[4:5], exec
	v_cmp_gt_u64_e64 s[4:5], s[12:13], 7
	s_cselect_b32 s15, s13, 0
	s_cselect_b32 s14, s12, 56
	s_and_b64 vcc, exec, s[4:5]
	s_cbranch_vccnz .LBB33_148
; %bb.144:                              ;   in Loop: Header=BB33_143 Depth=1
	s_mov_b64 s[4:5], 0
	s_cmp_eq_u64 s[12:13], 0
	v_pk_mov_b32 v[12:13], 0, 0
	s_cbranch_scc1 .LBB33_147
; %bb.145:                              ;   in Loop: Header=BB33_143 Depth=1
	s_lshl_b64 s[16:17], s[14:15], 3
	s_mov_b64 s[18:19], 0
	v_pk_mov_b32 v[12:13], 0, 0
	s_mov_b64 s[20:21], s[6:7]
.LBB33_146:                             ;   Parent Loop BB33_143 Depth=1
                                        ; =>  This Inner Loop Header: Depth=2
	global_load_ubyte v1, v35, s[20:21]
	s_waitcnt vmcnt(0)
	v_and_b32_e32 v34, 0xffff, v1
	v_lshlrev_b64 v[6:7], s18, v[34:35]
	s_add_u32 s18, s18, 8
	s_addc_u32 s19, s19, 0
	s_add_u32 s20, s20, 1
	s_addc_u32 s21, s21, 0
	v_or_b32_e32 v12, v6, v12
	s_cmp_lg_u32 s16, s18
	v_or_b32_e32 v13, v7, v13
	s_cbranch_scc1 .LBB33_146
.LBB33_147:                             ;   in Loop: Header=BB33_143 Depth=1
	s_mov_b32 s20, 0
	s_andn2_b64 vcc, exec, s[4:5]
	s_mov_b64 s[4:5], s[6:7]
	s_cbranch_vccz .LBB33_149
	s_branch .LBB33_150
.LBB33_148:                             ;   in Loop: Header=BB33_143 Depth=1
                                        ; implicit-def: $vgpr12_vgpr13
                                        ; implicit-def: $sgpr20
	s_mov_b64 s[4:5], s[6:7]
.LBB33_149:                             ;   in Loop: Header=BB33_143 Depth=1
	global_load_dwordx2 v[12:13], v35, s[6:7]
	s_add_i32 s20, s14, -8
	s_add_u32 s4, s6, 8
	s_addc_u32 s5, s7, 0
.LBB33_150:                             ;   in Loop: Header=BB33_143 Depth=1
	s_cmp_gt_u32 s20, 7
	s_cbranch_scc1 .LBB33_154
; %bb.151:                              ;   in Loop: Header=BB33_143 Depth=1
	s_cmp_eq_u32 s20, 0
	s_cbranch_scc1 .LBB33_155
; %bb.152:                              ;   in Loop: Header=BB33_143 Depth=1
	s_mov_b64 s[16:17], 0
	v_pk_mov_b32 v[14:15], 0, 0
	s_mov_b64 s[18:19], 0
.LBB33_153:                             ;   Parent Loop BB33_143 Depth=1
                                        ; =>  This Inner Loop Header: Depth=2
	s_add_u32 s22, s4, s18
	s_addc_u32 s23, s5, s19
	global_load_ubyte v1, v35, s[22:23]
	s_add_u32 s18, s18, 1
	s_addc_u32 s19, s19, 0
	s_waitcnt vmcnt(0)
	v_and_b32_e32 v34, 0xffff, v1
	v_lshlrev_b64 v[6:7], s16, v[34:35]
	s_add_u32 s16, s16, 8
	s_addc_u32 s17, s17, 0
	v_or_b32_e32 v14, v6, v14
	s_cmp_lg_u32 s20, s18
	v_or_b32_e32 v15, v7, v15
	s_cbranch_scc1 .LBB33_153
	s_branch .LBB33_156
.LBB33_154:                             ;   in Loop: Header=BB33_143 Depth=1
                                        ; implicit-def: $vgpr14_vgpr15
                                        ; implicit-def: $sgpr21
	s_branch .LBB33_157
.LBB33_155:                             ;   in Loop: Header=BB33_143 Depth=1
	v_pk_mov_b32 v[14:15], 0, 0
.LBB33_156:                             ;   in Loop: Header=BB33_143 Depth=1
	s_mov_b32 s21, 0
	s_cbranch_execnz .LBB33_158
.LBB33_157:                             ;   in Loop: Header=BB33_143 Depth=1
	global_load_dwordx2 v[14:15], v35, s[4:5]
	s_add_i32 s21, s20, -8
	s_add_u32 s4, s4, 8
	s_addc_u32 s5, s5, 0
.LBB33_158:                             ;   in Loop: Header=BB33_143 Depth=1
	s_cmp_gt_u32 s21, 7
	s_cbranch_scc1 .LBB33_162
; %bb.159:                              ;   in Loop: Header=BB33_143 Depth=1
	s_cmp_eq_u32 s21, 0
	s_cbranch_scc1 .LBB33_163
; %bb.160:                              ;   in Loop: Header=BB33_143 Depth=1
	s_mov_b64 s[16:17], 0
	v_pk_mov_b32 v[16:17], 0, 0
	s_mov_b64 s[18:19], 0
.LBB33_161:                             ;   Parent Loop BB33_143 Depth=1
                                        ; =>  This Inner Loop Header: Depth=2
	s_add_u32 s22, s4, s18
	s_addc_u32 s23, s5, s19
	global_load_ubyte v1, v35, s[22:23]
	s_add_u32 s18, s18, 1
	s_addc_u32 s19, s19, 0
	s_waitcnt vmcnt(0)
	v_and_b32_e32 v34, 0xffff, v1
	v_lshlrev_b64 v[6:7], s16, v[34:35]
	s_add_u32 s16, s16, 8
	s_addc_u32 s17, s17, 0
	v_or_b32_e32 v16, v6, v16
	s_cmp_lg_u32 s21, s18
	v_or_b32_e32 v17, v7, v17
	s_cbranch_scc1 .LBB33_161
	s_branch .LBB33_164
.LBB33_162:                             ;   in Loop: Header=BB33_143 Depth=1
                                        ; implicit-def: $sgpr20
	s_branch .LBB33_165
.LBB33_163:                             ;   in Loop: Header=BB33_143 Depth=1
	v_pk_mov_b32 v[16:17], 0, 0
.LBB33_164:                             ;   in Loop: Header=BB33_143 Depth=1
	s_mov_b32 s20, 0
	s_cbranch_execnz .LBB33_166
.LBB33_165:                             ;   in Loop: Header=BB33_143 Depth=1
	global_load_dwordx2 v[16:17], v35, s[4:5]
	s_add_i32 s20, s21, -8
	s_add_u32 s4, s4, 8
	s_addc_u32 s5, s5, 0
.LBB33_166:                             ;   in Loop: Header=BB33_143 Depth=1
	s_cmp_gt_u32 s20, 7
	s_cbranch_scc1 .LBB33_170
; %bb.167:                              ;   in Loop: Header=BB33_143 Depth=1
	s_cmp_eq_u32 s20, 0
	s_cbranch_scc1 .LBB33_171
; %bb.168:                              ;   in Loop: Header=BB33_143 Depth=1
	s_mov_b64 s[16:17], 0
	v_pk_mov_b32 v[18:19], 0, 0
	s_mov_b64 s[18:19], 0
.LBB33_169:                             ;   Parent Loop BB33_143 Depth=1
                                        ; =>  This Inner Loop Header: Depth=2
	s_add_u32 s22, s4, s18
	s_addc_u32 s23, s5, s19
	global_load_ubyte v1, v35, s[22:23]
	s_add_u32 s18, s18, 1
	s_addc_u32 s19, s19, 0
	s_waitcnt vmcnt(0)
	v_and_b32_e32 v34, 0xffff, v1
	v_lshlrev_b64 v[6:7], s16, v[34:35]
	s_add_u32 s16, s16, 8
	s_addc_u32 s17, s17, 0
	v_or_b32_e32 v18, v6, v18
	s_cmp_lg_u32 s20, s18
	v_or_b32_e32 v19, v7, v19
	s_cbranch_scc1 .LBB33_169
	s_branch .LBB33_172
.LBB33_170:                             ;   in Loop: Header=BB33_143 Depth=1
                                        ; implicit-def: $vgpr18_vgpr19
                                        ; implicit-def: $sgpr21
	s_branch .LBB33_173
.LBB33_171:                             ;   in Loop: Header=BB33_143 Depth=1
	v_pk_mov_b32 v[18:19], 0, 0
.LBB33_172:                             ;   in Loop: Header=BB33_143 Depth=1
	s_mov_b32 s21, 0
	s_cbranch_execnz .LBB33_174
.LBB33_173:                             ;   in Loop: Header=BB33_143 Depth=1
	global_load_dwordx2 v[18:19], v35, s[4:5]
	s_add_i32 s21, s20, -8
	s_add_u32 s4, s4, 8
	s_addc_u32 s5, s5, 0
.LBB33_174:                             ;   in Loop: Header=BB33_143 Depth=1
	s_cmp_gt_u32 s21, 7
	s_cbranch_scc1 .LBB33_178
; %bb.175:                              ;   in Loop: Header=BB33_143 Depth=1
	s_cmp_eq_u32 s21, 0
	s_cbranch_scc1 .LBB33_179
; %bb.176:                              ;   in Loop: Header=BB33_143 Depth=1
	s_mov_b64 s[16:17], 0
	v_pk_mov_b32 v[20:21], 0, 0
	s_mov_b64 s[18:19], 0
.LBB33_177:                             ;   Parent Loop BB33_143 Depth=1
                                        ; =>  This Inner Loop Header: Depth=2
	s_add_u32 s22, s4, s18
	s_addc_u32 s23, s5, s19
	global_load_ubyte v1, v35, s[22:23]
	s_add_u32 s18, s18, 1
	s_addc_u32 s19, s19, 0
	s_waitcnt vmcnt(0)
	v_and_b32_e32 v34, 0xffff, v1
	v_lshlrev_b64 v[6:7], s16, v[34:35]
	s_add_u32 s16, s16, 8
	s_addc_u32 s17, s17, 0
	v_or_b32_e32 v20, v6, v20
	s_cmp_lg_u32 s21, s18
	v_or_b32_e32 v21, v7, v21
	s_cbranch_scc1 .LBB33_177
	s_branch .LBB33_180
.LBB33_178:                             ;   in Loop: Header=BB33_143 Depth=1
                                        ; implicit-def: $sgpr20
	s_branch .LBB33_181
.LBB33_179:                             ;   in Loop: Header=BB33_143 Depth=1
	v_pk_mov_b32 v[20:21], 0, 0
.LBB33_180:                             ;   in Loop: Header=BB33_143 Depth=1
	s_mov_b32 s20, 0
	s_cbranch_execnz .LBB33_182
.LBB33_181:                             ;   in Loop: Header=BB33_143 Depth=1
	global_load_dwordx2 v[20:21], v35, s[4:5]
	s_add_i32 s20, s21, -8
	s_add_u32 s4, s4, 8
	s_addc_u32 s5, s5, 0
.LBB33_182:                             ;   in Loop: Header=BB33_143 Depth=1
	s_cmp_gt_u32 s20, 7
	s_cbranch_scc1 .LBB33_186
; %bb.183:                              ;   in Loop: Header=BB33_143 Depth=1
	s_cmp_eq_u32 s20, 0
	s_cbranch_scc1 .LBB33_187
; %bb.184:                              ;   in Loop: Header=BB33_143 Depth=1
	s_mov_b64 s[16:17], 0
	v_pk_mov_b32 v[22:23], 0, 0
	s_mov_b64 s[18:19], 0
.LBB33_185:                             ;   Parent Loop BB33_143 Depth=1
                                        ; =>  This Inner Loop Header: Depth=2
	s_add_u32 s22, s4, s18
	s_addc_u32 s23, s5, s19
	global_load_ubyte v1, v35, s[22:23]
	s_add_u32 s18, s18, 1
	s_addc_u32 s19, s19, 0
	s_waitcnt vmcnt(0)
	v_and_b32_e32 v34, 0xffff, v1
	v_lshlrev_b64 v[6:7], s16, v[34:35]
	s_add_u32 s16, s16, 8
	s_addc_u32 s17, s17, 0
	v_or_b32_e32 v22, v6, v22
	s_cmp_lg_u32 s20, s18
	v_or_b32_e32 v23, v7, v23
	s_cbranch_scc1 .LBB33_185
	s_branch .LBB33_188
.LBB33_186:                             ;   in Loop: Header=BB33_143 Depth=1
                                        ; implicit-def: $vgpr22_vgpr23
                                        ; implicit-def: $sgpr21
	s_branch .LBB33_189
.LBB33_187:                             ;   in Loop: Header=BB33_143 Depth=1
	v_pk_mov_b32 v[22:23], 0, 0
.LBB33_188:                             ;   in Loop: Header=BB33_143 Depth=1
	s_mov_b32 s21, 0
	s_cbranch_execnz .LBB33_190
.LBB33_189:                             ;   in Loop: Header=BB33_143 Depth=1
	global_load_dwordx2 v[22:23], v35, s[4:5]
	s_add_i32 s21, s20, -8
	s_add_u32 s4, s4, 8
	s_addc_u32 s5, s5, 0
.LBB33_190:                             ;   in Loop: Header=BB33_143 Depth=1
	s_cmp_gt_u32 s21, 7
	s_cbranch_scc1 .LBB33_194
; %bb.191:                              ;   in Loop: Header=BB33_143 Depth=1
	s_cmp_eq_u32 s21, 0
	s_cbranch_scc1 .LBB33_195
; %bb.192:                              ;   in Loop: Header=BB33_143 Depth=1
	s_mov_b64 s[16:17], 0
	v_pk_mov_b32 v[24:25], 0, 0
	s_mov_b64 s[18:19], s[4:5]
.LBB33_193:                             ;   Parent Loop BB33_143 Depth=1
                                        ; =>  This Inner Loop Header: Depth=2
	global_load_ubyte v1, v35, s[18:19]
	s_add_i32 s21, s21, -1
	s_waitcnt vmcnt(0)
	v_and_b32_e32 v34, 0xffff, v1
	v_lshlrev_b64 v[6:7], s16, v[34:35]
	s_add_u32 s16, s16, 8
	s_addc_u32 s17, s17, 0
	s_add_u32 s18, s18, 1
	s_addc_u32 s19, s19, 0
	v_or_b32_e32 v24, v6, v24
	s_cmp_lg_u32 s21, 0
	v_or_b32_e32 v25, v7, v25
	s_cbranch_scc1 .LBB33_193
	s_branch .LBB33_196
.LBB33_194:                             ;   in Loop: Header=BB33_143 Depth=1
	s_branch .LBB33_197
.LBB33_195:                             ;   in Loop: Header=BB33_143 Depth=1
	v_pk_mov_b32 v[24:25], 0, 0
.LBB33_196:                             ;   in Loop: Header=BB33_143 Depth=1
	s_cbranch_execnz .LBB33_198
.LBB33_197:                             ;   in Loop: Header=BB33_143 Depth=1
	global_load_dwordx2 v[24:25], v35, s[4:5]
.LBB33_198:                             ;   in Loop: Header=BB33_143 Depth=1
	v_readfirstlane_b32 s4, v39
	v_cmp_eq_u32_e64 s[4:5], s4, v39
	s_waitcnt vmcnt(0)
	v_pk_mov_b32 v[6:7], 0, 0
	s_and_saveexec_b64 s[16:17], s[4:5]
	s_cbranch_execz .LBB33_204
; %bb.199:                              ;   in Loop: Header=BB33_143 Depth=1
	global_load_dwordx2 v[28:29], v35, s[10:11] offset:24 glc
	s_waitcnt vmcnt(0)
	buffer_invl2
	buffer_wbinvl1_vol
	global_load_dwordx2 v[6:7], v35, s[10:11] offset:40
	global_load_dwordx2 v[10:11], v35, s[10:11]
	s_waitcnt vmcnt(1)
	v_and_b32_e32 v1, v6, v28
	v_and_b32_e32 v6, v7, v29
	v_mul_lo_u32 v6, v6, 24
	v_mul_hi_u32 v7, v1, 24
	v_mul_lo_u32 v1, v1, 24
	v_add_u32_e32 v7, v7, v6
	s_waitcnt vmcnt(0)
	v_add_co_u32_e32 v6, vcc, v10, v1
	v_addc_co_u32_e32 v7, vcc, v11, v7, vcc
	global_load_dwordx2 v[26:27], v[6:7], off glc
	s_waitcnt vmcnt(0)
	global_atomic_cmpswap_x2 v[6:7], v35, v[26:29], s[10:11] offset:24 glc
	s_waitcnt vmcnt(0)
	buffer_invl2
	buffer_wbinvl1_vol
	v_cmp_ne_u64_e32 vcc, v[6:7], v[28:29]
	s_and_saveexec_b64 s[18:19], vcc
	s_cbranch_execz .LBB33_203
; %bb.200:                              ;   in Loop: Header=BB33_143 Depth=1
	s_mov_b64 s[20:21], 0
.LBB33_201:                             ;   Parent Loop BB33_143 Depth=1
                                        ; =>  This Inner Loop Header: Depth=2
	s_sleep 1
	global_load_dwordx2 v[10:11], v35, s[10:11] offset:40
	global_load_dwordx2 v[26:27], v35, s[10:11]
	v_pk_mov_b32 v[28:29], v[6:7], v[6:7] op_sel:[0,1]
	s_waitcnt vmcnt(1)
	v_and_b32_e32 v6, v10, v28
	s_waitcnt vmcnt(0)
	v_mad_u64_u32 v[6:7], s[22:23], v6, 24, v[26:27]
	v_and_b32_e32 v1, v11, v29
	v_mov_b32_e32 v10, v7
	v_mad_u64_u32 v[10:11], s[22:23], v1, 24, v[10:11]
	v_mov_b32_e32 v7, v10
	global_load_dwordx2 v[26:27], v[6:7], off glc
	s_waitcnt vmcnt(0)
	global_atomic_cmpswap_x2 v[6:7], v35, v[26:29], s[10:11] offset:24 glc
	s_waitcnt vmcnt(0)
	buffer_invl2
	buffer_wbinvl1_vol
	v_cmp_eq_u64_e32 vcc, v[6:7], v[28:29]
	s_or_b64 s[20:21], vcc, s[20:21]
	s_andn2_b64 exec, exec, s[20:21]
	s_cbranch_execnz .LBB33_201
; %bb.202:                              ;   in Loop: Header=BB33_143 Depth=1
	s_or_b64 exec, exec, s[20:21]
.LBB33_203:                             ;   in Loop: Header=BB33_143 Depth=1
	s_or_b64 exec, exec, s[18:19]
.LBB33_204:                             ;   in Loop: Header=BB33_143 Depth=1
	s_or_b64 exec, exec, s[16:17]
	global_load_dwordx2 v[10:11], v35, s[10:11] offset:40
	global_load_dwordx4 v[26:29], v35, s[10:11]
	v_readfirstlane_b32 s16, v6
	v_readfirstlane_b32 s17, v7
	s_mov_b64 s[18:19], exec
	s_waitcnt vmcnt(1)
	v_readfirstlane_b32 s20, v10
	v_readfirstlane_b32 s21, v11
	s_and_b64 s[20:21], s[16:17], s[20:21]
	s_mul_i32 s22, s21, 24
	s_mul_hi_u32 s23, s20, 24
	s_mul_i32 s24, s20, 24
	s_add_i32 s22, s23, s22
	v_mov_b32_e32 v1, s22
	s_waitcnt vmcnt(0)
	v_add_co_u32_e32 v36, vcc, s24, v26
	v_addc_co_u32_e32 v37, vcc, v27, v1, vcc
	s_and_saveexec_b64 s[22:23], s[4:5]
	s_cbranch_execz .LBB33_206
; %bb.205:                              ;   in Loop: Header=BB33_143 Depth=1
	v_pk_mov_b32 v[6:7], s[18:19], s[18:19] op_sel:[0,1]
	global_store_dwordx4 v[36:37], v[6:9], off offset:8
.LBB33_206:                             ;   in Loop: Header=BB33_143 Depth=1
	s_or_b64 exec, exec, s[22:23]
	s_lshl_b64 s[18:19], s[20:21], 12
	v_mov_b32_e32 v1, s19
	v_add_co_u32_e32 v28, vcc, s18, v28
	v_addc_co_u32_e32 v1, vcc, v29, v1, vcc
	v_or_b32_e32 v7, v4, v32
	v_cmp_gt_u64_e64 vcc, s[12:13], 56
	s_lshl_b32 s18, s14, 2
	v_cndmask_b32_e32 v4, v7, v4, vcc
	s_add_i32 s18, s18, 28
	v_or_b32_e32 v6, 0, v5
	s_and_b32 s18, s18, 0x1e0
	v_and_b32_e32 v4, 0xffffff1f, v4
	v_cndmask_b32_e32 v11, v6, v5, vcc
	v_or_b32_e32 v10, s18, v4
	v_readfirstlane_b32 s18, v28
	v_readfirstlane_b32 s19, v1
	s_nop 4
	global_store_dwordx4 v38, v[10:13], s[18:19]
	global_store_dwordx4 v38, v[14:17], s[18:19] offset:16
	global_store_dwordx4 v38, v[18:21], s[18:19] offset:32
	global_store_dwordx4 v38, v[22:25], s[18:19] offset:48
	s_and_saveexec_b64 s[18:19], s[4:5]
	s_cbranch_execz .LBB33_214
; %bb.207:                              ;   in Loop: Header=BB33_143 Depth=1
	global_load_dwordx2 v[14:15], v35, s[10:11] offset:32 glc
	global_load_dwordx2 v[4:5], v35, s[10:11] offset:40
	v_mov_b32_e32 v12, s16
	v_mov_b32_e32 v13, s17
	s_waitcnt vmcnt(0)
	v_readfirstlane_b32 s20, v4
	v_readfirstlane_b32 s21, v5
	s_and_b64 s[20:21], s[20:21], s[16:17]
	s_mul_i32 s21, s21, 24
	s_mul_hi_u32 s22, s20, 24
	s_mul_i32 s20, s20, 24
	s_add_i32 s21, s22, s21
	v_mov_b32_e32 v4, s21
	v_add_co_u32_e32 v10, vcc, s20, v26
	v_addc_co_u32_e32 v11, vcc, v27, v4, vcc
	global_store_dwordx2 v[10:11], v[14:15], off
	buffer_wbl2
	s_waitcnt vmcnt(0)
	global_atomic_cmpswap_x2 v[6:7], v35, v[12:15], s[10:11] offset:32 glc
	s_waitcnt vmcnt(0)
	v_cmp_ne_u64_e32 vcc, v[6:7], v[14:15]
	s_and_saveexec_b64 s[20:21], vcc
	s_cbranch_execz .LBB33_210
; %bb.208:                              ;   in Loop: Header=BB33_143 Depth=1
	s_mov_b64 s[22:23], 0
.LBB33_209:                             ;   Parent Loop BB33_143 Depth=1
                                        ; =>  This Inner Loop Header: Depth=2
	s_sleep 1
	global_store_dwordx2 v[10:11], v[6:7], off
	v_mov_b32_e32 v4, s16
	v_mov_b32_e32 v5, s17
	buffer_wbl2
	s_waitcnt vmcnt(0)
	global_atomic_cmpswap_x2 v[4:5], v35, v[4:7], s[10:11] offset:32 glc
	s_waitcnt vmcnt(0)
	v_cmp_eq_u64_e32 vcc, v[4:5], v[6:7]
	s_or_b64 s[22:23], vcc, s[22:23]
	v_pk_mov_b32 v[6:7], v[4:5], v[4:5] op_sel:[0,1]
	s_andn2_b64 exec, exec, s[22:23]
	s_cbranch_execnz .LBB33_209
.LBB33_210:                             ;   in Loop: Header=BB33_143 Depth=1
	s_or_b64 exec, exec, s[20:21]
	global_load_dwordx2 v[4:5], v35, s[10:11] offset:16
	s_mov_b64 s[22:23], exec
	v_mbcnt_lo_u32_b32 v6, s22, 0
	v_mbcnt_hi_u32_b32 v6, s23, v6
	v_cmp_eq_u32_e32 vcc, 0, v6
	s_and_saveexec_b64 s[20:21], vcc
	s_cbranch_execz .LBB33_212
; %bb.211:                              ;   in Loop: Header=BB33_143 Depth=1
	s_bcnt1_i32_b64 s22, s[22:23]
	v_mov_b32_e32 v34, s22
	buffer_wbl2
	s_waitcnt vmcnt(0)
	global_atomic_add_x2 v[4:5], v[34:35], off offset:8
.LBB33_212:                             ;   in Loop: Header=BB33_143 Depth=1
	s_or_b64 exec, exec, s[20:21]
	s_waitcnt vmcnt(0)
	global_load_dwordx2 v[6:7], v[4:5], off offset:16
	s_waitcnt vmcnt(0)
	v_cmp_eq_u64_e32 vcc, 0, v[6:7]
	s_cbranch_vccnz .LBB33_214
; %bb.213:                              ;   in Loop: Header=BB33_143 Depth=1
	global_load_dword v34, v[4:5], off offset:24
	s_waitcnt vmcnt(0)
	v_and_b32_e32 v4, 0xffffff, v34
	v_readfirstlane_b32 m0, v4
	buffer_wbl2
	global_store_dwordx2 v[6:7], v[34:35], off
	s_sendmsg sendmsg(MSG_INTERRUPT)
.LBB33_214:                             ;   in Loop: Header=BB33_143 Depth=1
	s_or_b64 exec, exec, s[18:19]
	v_add_co_u32_e32 v4, vcc, v28, v38
	v_addc_co_u32_e32 v5, vcc, 0, v1, vcc
	s_branch .LBB33_218
.LBB33_215:                             ;   in Loop: Header=BB33_218 Depth=2
	s_or_b64 exec, exec, s[18:19]
	v_readfirstlane_b32 s18, v1
	s_cmp_eq_u32 s18, 0
	s_cbranch_scc1 .LBB33_217
; %bb.216:                              ;   in Loop: Header=BB33_218 Depth=2
	s_sleep 1
	s_cbranch_execnz .LBB33_218
	s_branch .LBB33_220
.LBB33_217:                             ;   in Loop: Header=BB33_143 Depth=1
	s_branch .LBB33_220
.LBB33_218:                             ;   Parent Loop BB33_143 Depth=1
                                        ; =>  This Inner Loop Header: Depth=2
	v_mov_b32_e32 v1, 1
	s_and_saveexec_b64 s[18:19], s[4:5]
	s_cbranch_execz .LBB33_215
; %bb.219:                              ;   in Loop: Header=BB33_218 Depth=2
	global_load_dword v1, v[36:37], off offset:20 glc
	s_waitcnt vmcnt(0)
	buffer_invl2
	buffer_wbinvl1_vol
	v_and_b32_e32 v1, 1, v1
	s_branch .LBB33_215
.LBB33_220:                             ;   in Loop: Header=BB33_143 Depth=1
	global_load_dwordx4 v[4:7], v[4:5], off
	s_and_saveexec_b64 s[18:19], s[4:5]
	s_cbranch_execz .LBB33_142
; %bb.221:                              ;   in Loop: Header=BB33_143 Depth=1
	global_load_dwordx2 v[6:7], v35, s[10:11] offset:40
	global_load_dwordx2 v[14:15], v35, s[10:11] offset:24 glc
	global_load_dwordx2 v[16:17], v35, s[10:11]
	v_mov_b32_e32 v1, s17
	s_waitcnt vmcnt(2)
	v_add_co_u32_e32 v13, vcc, 1, v6
	v_addc_co_u32_e32 v18, vcc, 0, v7, vcc
	v_add_co_u32_e32 v10, vcc, s16, v13
	v_addc_co_u32_e32 v11, vcc, v18, v1, vcc
	v_cmp_eq_u64_e32 vcc, 0, v[10:11]
	v_cndmask_b32_e32 v11, v11, v18, vcc
	v_cndmask_b32_e32 v10, v10, v13, vcc
	v_and_b32_e32 v1, v11, v7
	v_and_b32_e32 v6, v10, v6
	v_mul_lo_u32 v1, v1, 24
	v_mul_hi_u32 v7, v6, 24
	v_mul_lo_u32 v6, v6, 24
	v_add_u32_e32 v1, v7, v1
	s_waitcnt vmcnt(0)
	v_add_co_u32_e32 v6, vcc, v16, v6
	v_addc_co_u32_e32 v7, vcc, v17, v1, vcc
	v_mov_b32_e32 v12, v14
	global_store_dwordx2 v[6:7], v[14:15], off
	v_mov_b32_e32 v13, v15
	buffer_wbl2
	s_waitcnt vmcnt(0)
	global_atomic_cmpswap_x2 v[12:13], v35, v[10:13], s[10:11] offset:24 glc
	s_waitcnt vmcnt(0)
	v_cmp_ne_u64_e32 vcc, v[12:13], v[14:15]
	s_and_b64 exec, exec, vcc
	s_cbranch_execz .LBB33_142
; %bb.222:                              ;   in Loop: Header=BB33_143 Depth=1
	s_mov_b64 s[4:5], 0
.LBB33_223:                             ;   Parent Loop BB33_143 Depth=1
                                        ; =>  This Inner Loop Header: Depth=2
	s_sleep 1
	global_store_dwordx2 v[6:7], v[12:13], off
	buffer_wbl2
	s_waitcnt vmcnt(0)
	global_atomic_cmpswap_x2 v[14:15], v35, v[10:13], s[10:11] offset:24 glc
	s_waitcnt vmcnt(0)
	v_cmp_eq_u64_e32 vcc, v[14:15], v[12:13]
	s_or_b64 s[4:5], vcc, s[4:5]
	v_pk_mov_b32 v[12:13], v[14:15], v[14:15] op_sel:[0,1]
	s_andn2_b64 exec, exec, s[4:5]
	s_cbranch_execnz .LBB33_223
	s_branch .LBB33_142
.LBB33_224:
                                        ; implicit-def: $vgpr4_vgpr5
	s_cbranch_execnz .LBB33_226
	s_branch .LBB33_252
.LBB33_225:
	s_branch .LBB33_252
.LBB33_226:
	v_readfirstlane_b32 s4, v39
	v_cmp_eq_u32_e64 s[4:5], s4, v39
	v_pk_mov_b32 v[10:11], 0, 0
	s_and_saveexec_b64 s[6:7], s[4:5]
	s_cbranch_execz .LBB33_232
; %bb.227:
	v_mov_b32_e32 v1, 0
	global_load_dwordx2 v[6:7], v1, s[10:11] offset:24 glc
	s_waitcnt vmcnt(0)
	buffer_invl2
	buffer_wbinvl1_vol
	global_load_dwordx2 v[4:5], v1, s[10:11] offset:40
	global_load_dwordx2 v[8:9], v1, s[10:11]
	s_waitcnt vmcnt(1)
	v_and_b32_e32 v4, v4, v6
	v_and_b32_e32 v5, v5, v7
	v_mul_lo_u32 v5, v5, 24
	v_mul_hi_u32 v10, v4, 24
	v_mul_lo_u32 v4, v4, 24
	v_add_u32_e32 v5, v10, v5
	s_waitcnt vmcnt(0)
	v_add_co_u32_e32 v4, vcc, v8, v4
	v_addc_co_u32_e32 v5, vcc, v9, v5, vcc
	global_load_dwordx2 v[4:5], v[4:5], off glc
	s_waitcnt vmcnt(0)
	global_atomic_cmpswap_x2 v[10:11], v1, v[4:7], s[10:11] offset:24 glc
	s_waitcnt vmcnt(0)
	buffer_invl2
	buffer_wbinvl1_vol
	v_cmp_ne_u64_e32 vcc, v[10:11], v[6:7]
	s_and_saveexec_b64 s[12:13], vcc
	s_cbranch_execz .LBB33_231
; %bb.228:
	s_mov_b64 s[14:15], 0
.LBB33_229:                             ; =>This Inner Loop Header: Depth=1
	s_sleep 1
	global_load_dwordx2 v[4:5], v1, s[10:11] offset:40
	global_load_dwordx2 v[8:9], v1, s[10:11]
	v_pk_mov_b32 v[6:7], v[10:11], v[10:11] op_sel:[0,1]
	s_waitcnt vmcnt(1)
	v_and_b32_e32 v4, v4, v6
	v_and_b32_e32 v10, v5, v7
	s_waitcnt vmcnt(0)
	v_mad_u64_u32 v[4:5], s[16:17], v4, 24, v[8:9]
	v_mov_b32_e32 v8, v5
	v_mad_u64_u32 v[8:9], s[16:17], v10, 24, v[8:9]
	v_mov_b32_e32 v5, v8
	global_load_dwordx2 v[4:5], v[4:5], off glc
	s_waitcnt vmcnt(0)
	global_atomic_cmpswap_x2 v[10:11], v1, v[4:7], s[10:11] offset:24 glc
	s_waitcnt vmcnt(0)
	buffer_invl2
	buffer_wbinvl1_vol
	v_cmp_eq_u64_e32 vcc, v[10:11], v[6:7]
	s_or_b64 s[14:15], vcc, s[14:15]
	s_andn2_b64 exec, exec, s[14:15]
	s_cbranch_execnz .LBB33_229
; %bb.230:
	s_or_b64 exec, exec, s[14:15]
.LBB33_231:
	s_or_b64 exec, exec, s[12:13]
.LBB33_232:
	s_or_b64 exec, exec, s[6:7]
	s_waitcnt vmcnt(0)
	v_mov_b32_e32 v4, 0
	global_load_dwordx2 v[12:13], v4, s[10:11] offset:40
	global_load_dwordx4 v[6:9], v4, s[10:11]
	v_readfirstlane_b32 s6, v10
	v_readfirstlane_b32 s7, v11
	s_mov_b64 s[12:13], exec
	s_waitcnt vmcnt(1)
	v_readfirstlane_b32 s14, v12
	v_readfirstlane_b32 s15, v13
	s_and_b64 s[14:15], s[6:7], s[14:15]
	s_mul_i32 s16, s15, 24
	s_mul_hi_u32 s17, s14, 24
	s_mul_i32 s18, s14, 24
	s_add_i32 s16, s17, s16
	v_mov_b32_e32 v1, s16
	s_waitcnt vmcnt(0)
	v_add_co_u32_e32 v10, vcc, s18, v6
	v_addc_co_u32_e32 v11, vcc, v7, v1, vcc
	s_and_saveexec_b64 s[16:17], s[4:5]
	s_cbranch_execz .LBB33_234
; %bb.233:
	v_pk_mov_b32 v[12:13], s[12:13], s[12:13] op_sel:[0,1]
	v_mov_b32_e32 v14, 2
	v_mov_b32_e32 v15, 1
	global_store_dwordx4 v[10:11], v[12:15], off offset:8
.LBB33_234:
	s_or_b64 exec, exec, s[16:17]
	s_lshl_b64 s[12:13], s[14:15], 12
	v_mov_b32_e32 v1, s13
	v_add_co_u32_e32 v12, vcc, s12, v8
	s_movk_i32 s12, 0xff1f
	v_addc_co_u32_e32 v1, vcc, v9, v1, vcc
	v_and_or_b32 v2, v2, s12, 32
	s_mov_b32 s12, 0
	v_mov_b32_e32 v5, v4
	v_readfirstlane_b32 s16, v12
	v_readfirstlane_b32 s17, v1
	s_mov_b32 s13, s12
	v_add_co_u32_e32 v8, vcc, v12, v38
	s_mov_b32 s14, s12
	s_mov_b32 s15, s12
	s_nop 0
	global_store_dwordx4 v38, v[2:5], s[16:17]
	v_addc_co_u32_e32 v9, vcc, 0, v1, vcc
	v_pk_mov_b32 v[2:3], s[12:13], s[12:13] op_sel:[0,1]
	v_pk_mov_b32 v[4:5], s[14:15], s[14:15] op_sel:[0,1]
	global_store_dwordx4 v38, v[2:5], s[16:17] offset:16
	global_store_dwordx4 v38, v[2:5], s[16:17] offset:32
	;; [unrolled: 1-line block ×3, first 2 shown]
	s_and_saveexec_b64 s[12:13], s[4:5]
	s_cbranch_execz .LBB33_242
; %bb.235:
	v_mov_b32_e32 v1, 0
	global_load_dwordx2 v[14:15], v1, s[10:11] offset:32 glc
	global_load_dwordx2 v[2:3], v1, s[10:11] offset:40
	v_mov_b32_e32 v12, s6
	v_mov_b32_e32 v13, s7
	s_waitcnt vmcnt(0)
	v_readfirstlane_b32 s14, v2
	v_readfirstlane_b32 s15, v3
	s_and_b64 s[14:15], s[14:15], s[6:7]
	s_mul_i32 s15, s15, 24
	s_mul_hi_u32 s16, s14, 24
	s_mul_i32 s14, s14, 24
	s_add_i32 s15, s16, s15
	v_mov_b32_e32 v2, s15
	v_add_co_u32_e32 v6, vcc, s14, v6
	v_addc_co_u32_e32 v7, vcc, v7, v2, vcc
	global_store_dwordx2 v[6:7], v[14:15], off
	buffer_wbl2
	s_waitcnt vmcnt(0)
	global_atomic_cmpswap_x2 v[4:5], v1, v[12:15], s[10:11] offset:32 glc
	s_waitcnt vmcnt(0)
	v_cmp_ne_u64_e32 vcc, v[4:5], v[14:15]
	s_and_saveexec_b64 s[14:15], vcc
	s_cbranch_execz .LBB33_238
; %bb.236:
	s_mov_b64 s[16:17], 0
.LBB33_237:                             ; =>This Inner Loop Header: Depth=1
	s_sleep 1
	global_store_dwordx2 v[6:7], v[4:5], off
	v_mov_b32_e32 v2, s6
	v_mov_b32_e32 v3, s7
	buffer_wbl2
	s_waitcnt vmcnt(0)
	global_atomic_cmpswap_x2 v[2:3], v1, v[2:5], s[10:11] offset:32 glc
	s_waitcnt vmcnt(0)
	v_cmp_eq_u64_e32 vcc, v[2:3], v[4:5]
	s_or_b64 s[16:17], vcc, s[16:17]
	v_pk_mov_b32 v[4:5], v[2:3], v[2:3] op_sel:[0,1]
	s_andn2_b64 exec, exec, s[16:17]
	s_cbranch_execnz .LBB33_237
.LBB33_238:
	s_or_b64 exec, exec, s[14:15]
	v_mov_b32_e32 v5, 0
	global_load_dwordx2 v[2:3], v5, s[10:11] offset:16
	s_mov_b64 s[14:15], exec
	v_mbcnt_lo_u32_b32 v1, s14, 0
	v_mbcnt_hi_u32_b32 v1, s15, v1
	v_cmp_eq_u32_e32 vcc, 0, v1
	s_and_saveexec_b64 s[16:17], vcc
	s_cbranch_execz .LBB33_240
; %bb.239:
	s_bcnt1_i32_b64 s14, s[14:15]
	v_mov_b32_e32 v4, s14
	buffer_wbl2
	s_waitcnt vmcnt(0)
	global_atomic_add_x2 v[2:3], v[4:5], off offset:8
.LBB33_240:
	s_or_b64 exec, exec, s[16:17]
	s_waitcnt vmcnt(0)
	global_load_dwordx2 v[4:5], v[2:3], off offset:16
	s_waitcnt vmcnt(0)
	v_cmp_eq_u64_e32 vcc, 0, v[4:5]
	s_cbranch_vccnz .LBB33_242
; %bb.241:
	global_load_dword v2, v[2:3], off offset:24
	v_mov_b32_e32 v3, 0
	s_waitcnt vmcnt(0)
	v_and_b32_e32 v1, 0xffffff, v2
	v_readfirstlane_b32 m0, v1
	buffer_wbl2
	global_store_dwordx2 v[4:5], v[2:3], off
	s_sendmsg sendmsg(MSG_INTERRUPT)
.LBB33_242:
	s_or_b64 exec, exec, s[12:13]
	s_branch .LBB33_246
.LBB33_243:                             ;   in Loop: Header=BB33_246 Depth=1
	s_or_b64 exec, exec, s[12:13]
	v_readfirstlane_b32 s12, v1
	s_cmp_eq_u32 s12, 0
	s_cbranch_scc1 .LBB33_245
; %bb.244:                              ;   in Loop: Header=BB33_246 Depth=1
	s_sleep 1
	s_cbranch_execnz .LBB33_246
	s_branch .LBB33_248
.LBB33_245:
	s_branch .LBB33_248
.LBB33_246:                             ; =>This Inner Loop Header: Depth=1
	v_mov_b32_e32 v1, 1
	s_and_saveexec_b64 s[12:13], s[4:5]
	s_cbranch_execz .LBB33_243
; %bb.247:                              ;   in Loop: Header=BB33_246 Depth=1
	global_load_dword v1, v[10:11], off offset:20 glc
	s_waitcnt vmcnt(0)
	buffer_invl2
	buffer_wbinvl1_vol
	v_and_b32_e32 v1, 1, v1
	s_branch .LBB33_243
.LBB33_248:
	global_load_dwordx2 v[4:5], v[8:9], off
	s_and_saveexec_b64 s[12:13], s[4:5]
	s_cbranch_execz .LBB33_251
; %bb.249:
	v_mov_b32_e32 v1, 0
	global_load_dwordx2 v[2:3], v1, s[10:11] offset:40
	global_load_dwordx2 v[10:11], v1, s[10:11] offset:24 glc
	global_load_dwordx2 v[12:13], v1, s[10:11]
	v_mov_b32_e32 v7, s7
	s_mov_b64 s[4:5], 0
	s_waitcnt vmcnt(2)
	v_add_co_u32_e32 v9, vcc, 1, v2
	v_addc_co_u32_e32 v14, vcc, 0, v3, vcc
	v_add_co_u32_e32 v6, vcc, s6, v9
	v_addc_co_u32_e32 v7, vcc, v14, v7, vcc
	v_cmp_eq_u64_e32 vcc, 0, v[6:7]
	v_cndmask_b32_e32 v7, v7, v14, vcc
	v_cndmask_b32_e32 v6, v6, v9, vcc
	v_and_b32_e32 v3, v7, v3
	v_and_b32_e32 v2, v6, v2
	v_mul_lo_u32 v3, v3, 24
	v_mul_hi_u32 v9, v2, 24
	v_mul_lo_u32 v2, v2, 24
	v_add_u32_e32 v3, v9, v3
	s_waitcnt vmcnt(0)
	v_add_co_u32_e32 v2, vcc, v12, v2
	v_addc_co_u32_e32 v3, vcc, v13, v3, vcc
	v_mov_b32_e32 v8, v10
	global_store_dwordx2 v[2:3], v[10:11], off
	v_mov_b32_e32 v9, v11
	buffer_wbl2
	s_waitcnt vmcnt(0)
	global_atomic_cmpswap_x2 v[8:9], v1, v[6:9], s[10:11] offset:24 glc
	s_waitcnt vmcnt(0)
	v_cmp_ne_u64_e32 vcc, v[8:9], v[10:11]
	s_and_b64 exec, exec, vcc
	s_cbranch_execz .LBB33_251
.LBB33_250:                             ; =>This Inner Loop Header: Depth=1
	s_sleep 1
	global_store_dwordx2 v[2:3], v[8:9], off
	buffer_wbl2
	s_waitcnt vmcnt(0)
	global_atomic_cmpswap_x2 v[10:11], v1, v[6:9], s[10:11] offset:24 glc
	s_waitcnt vmcnt(0)
	v_cmp_eq_u64_e32 vcc, v[10:11], v[8:9]
	s_or_b64 s[4:5], vcc, s[4:5]
	v_pk_mov_b32 v[8:9], v[10:11], v[10:11] op_sel:[0,1]
	s_andn2_b64 exec, exec, s[4:5]
	s_cbranch_execnz .LBB33_250
.LBB33_251:
	s_or_b64 exec, exec, s[12:13]
.LBB33_252:
	v_readfirstlane_b32 s4, v39
	v_cmp_eq_u32_e64 s[4:5], s4, v39
	s_waitcnt vmcnt(0)
	v_pk_mov_b32 v[2:3], 0, 0
	s_and_saveexec_b64 s[6:7], s[4:5]
	s_cbranch_execz .LBB33_258
; %bb.253:
	v_mov_b32_e32 v1, 0
	global_load_dwordx2 v[8:9], v1, s[10:11] offset:24 glc
	s_waitcnt vmcnt(0)
	buffer_invl2
	buffer_wbinvl1_vol
	global_load_dwordx2 v[2:3], v1, s[10:11] offset:40
	global_load_dwordx2 v[6:7], v1, s[10:11]
	s_waitcnt vmcnt(1)
	v_and_b32_e32 v2, v2, v8
	v_and_b32_e32 v3, v3, v9
	v_mul_lo_u32 v3, v3, 24
	v_mul_hi_u32 v10, v2, 24
	v_mul_lo_u32 v2, v2, 24
	v_add_u32_e32 v3, v10, v3
	s_waitcnt vmcnt(0)
	v_add_co_u32_e32 v2, vcc, v6, v2
	v_addc_co_u32_e32 v3, vcc, v7, v3, vcc
	global_load_dwordx2 v[6:7], v[2:3], off glc
	s_waitcnt vmcnt(0)
	global_atomic_cmpswap_x2 v[2:3], v1, v[6:9], s[10:11] offset:24 glc
	s_waitcnt vmcnt(0)
	buffer_invl2
	buffer_wbinvl1_vol
	v_cmp_ne_u64_e32 vcc, v[2:3], v[8:9]
	s_and_saveexec_b64 s[12:13], vcc
	s_cbranch_execz .LBB33_257
; %bb.254:
	s_mov_b64 s[14:15], 0
.LBB33_255:                             ; =>This Inner Loop Header: Depth=1
	s_sleep 1
	global_load_dwordx2 v[6:7], v1, s[10:11] offset:40
	global_load_dwordx2 v[10:11], v1, s[10:11]
	v_pk_mov_b32 v[8:9], v[2:3], v[2:3] op_sel:[0,1]
	s_waitcnt vmcnt(1)
	v_and_b32_e32 v2, v6, v8
	s_waitcnt vmcnt(0)
	v_mad_u64_u32 v[2:3], s[16:17], v2, 24, v[10:11]
	v_and_b32_e32 v7, v7, v9
	v_mov_b32_e32 v6, v3
	v_mad_u64_u32 v[6:7], s[16:17], v7, 24, v[6:7]
	v_mov_b32_e32 v3, v6
	global_load_dwordx2 v[6:7], v[2:3], off glc
	s_waitcnt vmcnt(0)
	global_atomic_cmpswap_x2 v[2:3], v1, v[6:9], s[10:11] offset:24 glc
	s_waitcnt vmcnt(0)
	buffer_invl2
	buffer_wbinvl1_vol
	v_cmp_eq_u64_e32 vcc, v[2:3], v[8:9]
	s_or_b64 s[14:15], vcc, s[14:15]
	s_andn2_b64 exec, exec, s[14:15]
	s_cbranch_execnz .LBB33_255
; %bb.256:
	s_or_b64 exec, exec, s[14:15]
.LBB33_257:
	s_or_b64 exec, exec, s[12:13]
.LBB33_258:
	s_or_b64 exec, exec, s[6:7]
	v_mov_b32_e32 v7, 0
	global_load_dwordx2 v[12:13], v7, s[10:11] offset:40
	global_load_dwordx4 v[8:11], v7, s[10:11]
	v_readfirstlane_b32 s6, v2
	v_readfirstlane_b32 s7, v3
	s_mov_b64 s[12:13], exec
	s_waitcnt vmcnt(1)
	v_readfirstlane_b32 s14, v12
	v_readfirstlane_b32 s15, v13
	s_and_b64 s[14:15], s[6:7], s[14:15]
	s_mul_i32 s16, s15, 24
	s_mul_hi_u32 s17, s14, 24
	s_mul_i32 s18, s14, 24
	s_add_i32 s16, s17, s16
	v_mov_b32_e32 v1, s16
	s_waitcnt vmcnt(0)
	v_add_co_u32_e32 v12, vcc, s18, v8
	v_addc_co_u32_e32 v13, vcc, v9, v1, vcc
	s_and_saveexec_b64 s[16:17], s[4:5]
	s_cbranch_execz .LBB33_260
; %bb.259:
	v_pk_mov_b32 v[14:15], s[12:13], s[12:13] op_sel:[0,1]
	v_mov_b32_e32 v16, 2
	v_mov_b32_e32 v17, 1
	global_store_dwordx4 v[12:13], v[14:17], off offset:8
.LBB33_260:
	s_or_b64 exec, exec, s[16:17]
	s_lshl_b64 s[12:13], s[14:15], 12
	v_mov_b32_e32 v1, s13
	v_add_co_u32_e32 v2, vcc, s12, v10
	v_addc_co_u32_e32 v1, vcc, v11, v1, vcc
	s_mov_b32 s12, 0
	s_movk_i32 s13, 0xff1f
	v_and_or_b32 v4, v4, s13, 32
	v_add_co_u32_e32 v10, vcc, v2, v38
	s_mov_b32 s13, s12
	v_addc_co_u32_e32 v11, vcc, 0, v1, vcc
	v_mov_b32_e32 v6, v0
	v_readfirstlane_b32 s16, v2
	v_readfirstlane_b32 s17, v1
	s_mov_b32 s14, s12
	s_mov_b32 s15, s12
	v_pk_mov_b32 v[0:1], s[12:13], s[12:13] op_sel:[0,1]
	v_pk_mov_b32 v[2:3], s[14:15], s[14:15] op_sel:[0,1]
	s_nop 0
	global_store_dwordx4 v38, v[4:7], s[16:17]
	global_store_dwordx4 v38, v[0:3], s[16:17] offset:16
	global_store_dwordx4 v38, v[0:3], s[16:17] offset:32
	;; [unrolled: 1-line block ×3, first 2 shown]
	s_and_saveexec_b64 s[12:13], s[4:5]
	s_cbranch_execz .LBB33_268
; %bb.261:
	v_mov_b32_e32 v6, 0
	global_load_dwordx2 v[16:17], v6, s[10:11] offset:32 glc
	global_load_dwordx2 v[0:1], v6, s[10:11] offset:40
	v_mov_b32_e32 v14, s6
	v_mov_b32_e32 v15, s7
	s_waitcnt vmcnt(0)
	v_readfirstlane_b32 s14, v0
	v_readfirstlane_b32 s15, v1
	s_and_b64 s[14:15], s[14:15], s[6:7]
	s_mul_i32 s15, s15, 24
	s_mul_hi_u32 s16, s14, 24
	s_mul_i32 s14, s14, 24
	s_add_i32 s15, s16, s15
	v_mov_b32_e32 v0, s15
	v_add_co_u32_e32 v4, vcc, s14, v8
	v_addc_co_u32_e32 v5, vcc, v9, v0, vcc
	global_store_dwordx2 v[4:5], v[16:17], off
	buffer_wbl2
	s_waitcnt vmcnt(0)
	global_atomic_cmpswap_x2 v[2:3], v6, v[14:17], s[10:11] offset:32 glc
	s_waitcnt vmcnt(0)
	v_cmp_ne_u64_e32 vcc, v[2:3], v[16:17]
	s_and_saveexec_b64 s[14:15], vcc
	s_cbranch_execz .LBB33_264
; %bb.262:
	s_mov_b64 s[16:17], 0
.LBB33_263:                             ; =>This Inner Loop Header: Depth=1
	s_sleep 1
	global_store_dwordx2 v[4:5], v[2:3], off
	v_mov_b32_e32 v0, s6
	v_mov_b32_e32 v1, s7
	buffer_wbl2
	s_waitcnt vmcnt(0)
	global_atomic_cmpswap_x2 v[0:1], v6, v[0:3], s[10:11] offset:32 glc
	s_waitcnt vmcnt(0)
	v_cmp_eq_u64_e32 vcc, v[0:1], v[2:3]
	s_or_b64 s[16:17], vcc, s[16:17]
	v_pk_mov_b32 v[2:3], v[0:1], v[0:1] op_sel:[0,1]
	s_andn2_b64 exec, exec, s[16:17]
	s_cbranch_execnz .LBB33_263
.LBB33_264:
	s_or_b64 exec, exec, s[14:15]
	v_mov_b32_e32 v3, 0
	global_load_dwordx2 v[0:1], v3, s[10:11] offset:16
	s_mov_b64 s[14:15], exec
	v_mbcnt_lo_u32_b32 v2, s14, 0
	v_mbcnt_hi_u32_b32 v2, s15, v2
	v_cmp_eq_u32_e32 vcc, 0, v2
	s_and_saveexec_b64 s[16:17], vcc
	s_cbranch_execz .LBB33_266
; %bb.265:
	s_bcnt1_i32_b64 s14, s[14:15]
	v_mov_b32_e32 v2, s14
	buffer_wbl2
	s_waitcnt vmcnt(0)
	global_atomic_add_x2 v[0:1], v[2:3], off offset:8
.LBB33_266:
	s_or_b64 exec, exec, s[16:17]
	s_waitcnt vmcnt(0)
	global_load_dwordx2 v[2:3], v[0:1], off offset:16
	s_waitcnt vmcnt(0)
	v_cmp_eq_u64_e32 vcc, 0, v[2:3]
	s_cbranch_vccnz .LBB33_268
; %bb.267:
	global_load_dword v0, v[0:1], off offset:24
	v_mov_b32_e32 v1, 0
	buffer_wbl2
	s_waitcnt vmcnt(0)
	global_store_dwordx2 v[2:3], v[0:1], off
	v_and_b32_e32 v0, 0xffffff, v0
	v_readfirstlane_b32 m0, v0
	s_sendmsg sendmsg(MSG_INTERRUPT)
.LBB33_268:
	s_or_b64 exec, exec, s[12:13]
	s_branch .LBB33_272
.LBB33_269:                             ;   in Loop: Header=BB33_272 Depth=1
	s_or_b64 exec, exec, s[12:13]
	v_readfirstlane_b32 s12, v0
	s_cmp_eq_u32 s12, 0
	s_cbranch_scc1 .LBB33_271
; %bb.270:                              ;   in Loop: Header=BB33_272 Depth=1
	s_sleep 1
	s_cbranch_execnz .LBB33_272
	s_branch .LBB33_274
.LBB33_271:
	s_branch .LBB33_274
.LBB33_272:                             ; =>This Inner Loop Header: Depth=1
	v_mov_b32_e32 v0, 1
	s_and_saveexec_b64 s[12:13], s[4:5]
	s_cbranch_execz .LBB33_269
; %bb.273:                              ;   in Loop: Header=BB33_272 Depth=1
	global_load_dword v0, v[12:13], off offset:20 glc
	s_waitcnt vmcnt(0)
	buffer_invl2
	buffer_wbinvl1_vol
	v_and_b32_e32 v0, 1, v0
	s_branch .LBB33_269
.LBB33_274:
	global_load_dwordx2 v[0:1], v[10:11], off
	s_and_saveexec_b64 s[12:13], s[4:5]
	s_cbranch_execz .LBB33_277
; %bb.275:
	v_mov_b32_e32 v8, 0
	global_load_dwordx2 v[6:7], v8, s[10:11] offset:40
	global_load_dwordx2 v[10:11], v8, s[10:11] offset:24 glc
	global_load_dwordx2 v[12:13], v8, s[10:11]
	v_mov_b32_e32 v3, s7
	s_mov_b64 s[4:5], 0
	s_waitcnt vmcnt(2)
	v_add_co_u32_e32 v5, vcc, 1, v6
	v_addc_co_u32_e32 v9, vcc, 0, v7, vcc
	v_add_co_u32_e32 v2, vcc, s6, v5
	v_addc_co_u32_e32 v3, vcc, v9, v3, vcc
	v_cmp_eq_u64_e32 vcc, 0, v[2:3]
	v_cndmask_b32_e32 v3, v3, v9, vcc
	v_cndmask_b32_e32 v2, v2, v5, vcc
	v_and_b32_e32 v5, v3, v7
	v_and_b32_e32 v6, v2, v6
	v_mul_lo_u32 v5, v5, 24
	v_mul_hi_u32 v7, v6, 24
	v_mul_lo_u32 v6, v6, 24
	v_add_u32_e32 v5, v7, v5
	s_waitcnt vmcnt(0)
	v_add_co_u32_e32 v6, vcc, v12, v6
	v_addc_co_u32_e32 v7, vcc, v13, v5, vcc
	v_mov_b32_e32 v4, v10
	global_store_dwordx2 v[6:7], v[10:11], off
	v_mov_b32_e32 v5, v11
	buffer_wbl2
	s_waitcnt vmcnt(0)
	global_atomic_cmpswap_x2 v[4:5], v8, v[2:5], s[10:11] offset:24 glc
	s_waitcnt vmcnt(0)
	v_cmp_ne_u64_e32 vcc, v[4:5], v[10:11]
	s_and_b64 exec, exec, vcc
	s_cbranch_execz .LBB33_277
.LBB33_276:                             ; =>This Inner Loop Header: Depth=1
	s_sleep 1
	global_store_dwordx2 v[6:7], v[4:5], off
	buffer_wbl2
	s_waitcnt vmcnt(0)
	global_atomic_cmpswap_x2 v[10:11], v8, v[2:5], s[10:11] offset:24 glc
	s_waitcnt vmcnt(0)
	v_cmp_eq_u64_e32 vcc, v[10:11], v[4:5]
	s_or_b64 s[4:5], vcc, s[4:5]
	v_pk_mov_b32 v[4:5], v[10:11], v[10:11] op_sel:[0,1]
	s_andn2_b64 exec, exec, s[4:5]
	s_cbranch_execnz .LBB33_276
.LBB33_277:
	s_or_b64 exec, exec, s[12:13]
	s_mov_b64 s[4:5], 0
	v_pk_mov_b32 v[4:5], v[30:31], v[30:31] op_sel:[0,1]
.LBB33_278:                             ; =>This Inner Loop Header: Depth=1
	flat_load_ubyte v6, v[4:5]
	v_add_co_u32_e32 v2, vcc, 1, v4
	v_addc_co_u32_e32 v3, vcc, 0, v5, vcc
	v_pk_mov_b32 v[4:5], v[2:3], v[2:3] op_sel:[0,1]
	s_waitcnt vmcnt(0) lgkmcnt(0)
	v_cmp_eq_u16_e32 vcc, 0, v6
	s_or_b64 s[4:5], vcc, s[4:5]
	s_andn2_b64 exec, exec, s[4:5]
	s_cbranch_execnz .LBB33_278
; %bb.279:
	s_or_b64 exec, exec, s[4:5]
	s_mov_b64 s[6:7], 0
	v_cmp_ne_u64_e32 vcc, 0, v[30:31]
	s_and_saveexec_b64 s[4:5], vcc
	s_xor_b64 s[12:13], exec, s[4:5]
	s_cbranch_execz .LBB33_365
; %bb.280:
	v_sub_u32_e32 v26, v2, v30
	v_ashrrev_i32_e32 v27, 31, v26
	v_and_b32_e32 v28, 2, v0
	v_mov_b32_e32 v33, 0
	v_and_b32_e32 v0, -3, v0
	s_mov_b32 s22, 0
	s_movk_i32 s23, 0xff1f
	v_mov_b32_e32 v4, 2
	v_mov_b32_e32 v5, 1
	s_branch .LBB33_282
.LBB33_281:                             ;   in Loop: Header=BB33_282 Depth=1
	s_or_b64 exec, exec, s[16:17]
	v_sub_co_u32_e32 v26, vcc, v26, v34
	v_subb_co_u32_e32 v27, vcc, v27, v35, vcc
	v_cmp_eq_u64_e32 vcc, 0, v[26:27]
	s_or_b64 s[6:7], vcc, s[6:7]
	v_add_co_u32_e32 v30, vcc, v30, v34
	v_addc_co_u32_e32 v31, vcc, v31, v35, vcc
	s_andn2_b64 exec, exec, s[6:7]
	s_cbranch_execz .LBB33_364
.LBB33_282:                             ; =>This Loop Header: Depth=1
                                        ;     Child Loop BB33_285 Depth 2
                                        ;     Child Loop BB33_293 Depth 2
	;; [unrolled: 1-line block ×11, first 2 shown]
	v_cmp_gt_u64_e32 vcc, 56, v[26:27]
	v_cndmask_b32_e32 v35, 0, v27, vcc
	v_cndmask_b32_e32 v34, 56, v26, vcc
	v_cmp_gt_u64_e32 vcc, 8, v[26:27]
                                        ; implicit-def: $vgpr8_vgpr9
                                        ; implicit-def: $sgpr14
	s_and_saveexec_b64 s[4:5], vcc
	s_xor_b64 s[4:5], exec, s[4:5]
	s_cbranch_execz .LBB33_288
; %bb.283:                              ;   in Loop: Header=BB33_282 Depth=1
	s_mov_b64 s[16:17], 0
	v_cmp_ne_u64_e32 vcc, 0, v[26:27]
	v_pk_mov_b32 v[8:9], 0, 0
	s_and_saveexec_b64 s[14:15], vcc
	s_cbranch_execz .LBB33_287
; %bb.284:                              ;   in Loop: Header=BB33_282 Depth=1
	s_waitcnt vmcnt(0)
	v_lshlrev_b64 v[2:3], 3, v[34:35]
	v_pk_mov_b32 v[8:9], 0, 0
	v_pk_mov_b32 v[6:7], v[30:31], v[30:31] op_sel:[0,1]
	s_mov_b64 s[18:19], 0
.LBB33_285:                             ;   Parent Loop BB33_282 Depth=1
                                        ; =>  This Inner Loop Header: Depth=2
	flat_load_ubyte v3, v[6:7]
	v_mov_b32_e32 v11, s22
	v_add_co_u32_e32 v6, vcc, 1, v6
	v_addc_co_u32_e32 v7, vcc, 0, v7, vcc
	s_waitcnt vmcnt(0) lgkmcnt(0)
	v_and_b32_e32 v10, 0xffff, v3
	v_lshlrev_b64 v[10:11], s18, v[10:11]
	s_add_u32 s18, s18, 8
	s_addc_u32 s19, s19, 0
	v_cmp_eq_u32_e32 vcc, s18, v2
	v_or_b32_e32 v9, v11, v9
	s_or_b64 s[16:17], vcc, s[16:17]
	v_or_b32_e32 v8, v10, v8
	s_andn2_b64 exec, exec, s[16:17]
	s_cbranch_execnz .LBB33_285
; %bb.286:                              ;   in Loop: Header=BB33_282 Depth=1
	s_or_b64 exec, exec, s[16:17]
.LBB33_287:                             ;   in Loop: Header=BB33_282 Depth=1
	s_or_b64 exec, exec, s[14:15]
	s_mov_b32 s14, 0
.LBB33_288:                             ;   in Loop: Header=BB33_282 Depth=1
	s_or_saveexec_b64 s[4:5], s[4:5]
	v_mov_b32_e32 v6, s14
	s_waitcnt vmcnt(0)
	v_pk_mov_b32 v[2:3], v[30:31], v[30:31] op_sel:[0,1]
	s_xor_b64 exec, exec, s[4:5]
	s_cbranch_execz .LBB33_290
; %bb.289:                              ;   in Loop: Header=BB33_282 Depth=1
	flat_load_dwordx2 v[2:3], v[30:31]
	v_add_u32_e32 v6, -8, v34
	s_waitcnt vmcnt(0) lgkmcnt(0)
	v_and_b32_e32 v7, 0xff, v3
	v_and_b32_e32 v9, 0xff00, v3
	;; [unrolled: 1-line block ×4, first 2 shown]
	v_or3_b32 v8, v2, 0, 0
	v_or_b32_e32 v2, v7, v9
	v_or3_b32 v9, v2, v10, v3
	v_add_co_u32_e32 v2, vcc, 8, v30
	v_addc_co_u32_e32 v3, vcc, 0, v31, vcc
.LBB33_290:                             ;   in Loop: Header=BB33_282 Depth=1
	s_or_b64 exec, exec, s[4:5]
	v_cmp_gt_u32_e32 vcc, 8, v6
                                        ; implicit-def: $vgpr10_vgpr11
                                        ; implicit-def: $sgpr14
	s_and_saveexec_b64 s[4:5], vcc
	s_xor_b64 s[4:5], exec, s[4:5]
	s_cbranch_execz .LBB33_296
; %bb.291:                              ;   in Loop: Header=BB33_282 Depth=1
	v_cmp_ne_u32_e32 vcc, 0, v6
	v_pk_mov_b32 v[10:11], 0, 0
	s_and_saveexec_b64 s[14:15], vcc
	s_cbranch_execz .LBB33_295
; %bb.292:                              ;   in Loop: Header=BB33_282 Depth=1
	s_mov_b64 s[16:17], 0
	v_pk_mov_b32 v[10:11], 0, 0
	s_mov_b64 s[18:19], 0
	s_mov_b64 s[20:21], 0
.LBB33_293:                             ;   Parent Loop BB33_282 Depth=1
                                        ; =>  This Inner Loop Header: Depth=2
	v_mov_b32_e32 v7, s21
	v_add_co_u32_e32 v12, vcc, s20, v2
	v_addc_co_u32_e32 v13, vcc, v3, v7, vcc
	flat_load_ubyte v7, v[12:13]
	s_add_u32 s20, s20, 1
	v_mov_b32_e32 v13, s22
	s_addc_u32 s21, s21, 0
	v_cmp_eq_u32_e32 vcc, s20, v6
	s_waitcnt vmcnt(0) lgkmcnt(0)
	v_and_b32_e32 v12, 0xffff, v7
	v_lshlrev_b64 v[12:13], s18, v[12:13]
	s_add_u32 s18, s18, 8
	s_addc_u32 s19, s19, 0
	v_or_b32_e32 v11, v13, v11
	s_or_b64 s[16:17], vcc, s[16:17]
	v_or_b32_e32 v10, v12, v10
	s_andn2_b64 exec, exec, s[16:17]
	s_cbranch_execnz .LBB33_293
; %bb.294:                              ;   in Loop: Header=BB33_282 Depth=1
	s_or_b64 exec, exec, s[16:17]
.LBB33_295:                             ;   in Loop: Header=BB33_282 Depth=1
	s_or_b64 exec, exec, s[14:15]
	s_mov_b32 s14, 0
                                        ; implicit-def: $vgpr6
.LBB33_296:                             ;   in Loop: Header=BB33_282 Depth=1
	s_or_saveexec_b64 s[4:5], s[4:5]
	v_mov_b32_e32 v7, s14
	s_xor_b64 exec, exec, s[4:5]
	s_cbranch_execz .LBB33_298
; %bb.297:                              ;   in Loop: Header=BB33_282 Depth=1
	flat_load_dwordx2 v[10:11], v[2:3]
	v_add_u32_e32 v7, -8, v6
	v_add_co_u32_e32 v2, vcc, 8, v2
	v_addc_co_u32_e32 v3, vcc, 0, v3, vcc
	s_waitcnt vmcnt(0) lgkmcnt(0)
	v_and_b32_e32 v6, 0xff, v11
	v_and_b32_e32 v12, 0xff00, v11
	;; [unrolled: 1-line block ×4, first 2 shown]
	v_or_b32_e32 v6, v6, v12
	v_or3_b32 v10, v10, 0, 0
	v_or3_b32 v11, v6, v13, v11
.LBB33_298:                             ;   in Loop: Header=BB33_282 Depth=1
	s_or_b64 exec, exec, s[4:5]
	v_cmp_gt_u32_e32 vcc, 8, v7
                                        ; implicit-def: $sgpr14
	s_and_saveexec_b64 s[4:5], vcc
	s_xor_b64 s[4:5], exec, s[4:5]
	s_cbranch_execz .LBB33_304
; %bb.299:                              ;   in Loop: Header=BB33_282 Depth=1
	v_cmp_ne_u32_e32 vcc, 0, v7
	v_pk_mov_b32 v[12:13], 0, 0
	s_and_saveexec_b64 s[14:15], vcc
	s_cbranch_execz .LBB33_303
; %bb.300:                              ;   in Loop: Header=BB33_282 Depth=1
	s_mov_b64 s[16:17], 0
	v_pk_mov_b32 v[12:13], 0, 0
	s_mov_b64 s[18:19], 0
	s_mov_b64 s[20:21], 0
.LBB33_301:                             ;   Parent Loop BB33_282 Depth=1
                                        ; =>  This Inner Loop Header: Depth=2
	v_mov_b32_e32 v6, s21
	v_add_co_u32_e32 v14, vcc, s20, v2
	v_addc_co_u32_e32 v15, vcc, v3, v6, vcc
	flat_load_ubyte v6, v[14:15]
	s_add_u32 s20, s20, 1
	v_mov_b32_e32 v15, s22
	s_addc_u32 s21, s21, 0
	v_cmp_eq_u32_e32 vcc, s20, v7
	s_waitcnt vmcnt(0) lgkmcnt(0)
	v_and_b32_e32 v14, 0xffff, v6
	v_lshlrev_b64 v[14:15], s18, v[14:15]
	s_add_u32 s18, s18, 8
	s_addc_u32 s19, s19, 0
	v_or_b32_e32 v13, v15, v13
	s_or_b64 s[16:17], vcc, s[16:17]
	v_or_b32_e32 v12, v14, v12
	s_andn2_b64 exec, exec, s[16:17]
	s_cbranch_execnz .LBB33_301
; %bb.302:                              ;   in Loop: Header=BB33_282 Depth=1
	s_or_b64 exec, exec, s[16:17]
.LBB33_303:                             ;   in Loop: Header=BB33_282 Depth=1
	s_or_b64 exec, exec, s[14:15]
	s_mov_b32 s14, 0
                                        ; implicit-def: $vgpr7
.LBB33_304:                             ;   in Loop: Header=BB33_282 Depth=1
	s_or_saveexec_b64 s[4:5], s[4:5]
	v_mov_b32_e32 v6, s14
	s_xor_b64 exec, exec, s[4:5]
	s_cbranch_execz .LBB33_306
; %bb.305:                              ;   in Loop: Header=BB33_282 Depth=1
	flat_load_dwordx2 v[12:13], v[2:3]
	v_add_u32_e32 v6, -8, v7
	v_add_co_u32_e32 v2, vcc, 8, v2
	v_addc_co_u32_e32 v3, vcc, 0, v3, vcc
	s_waitcnt vmcnt(0) lgkmcnt(0)
	v_and_b32_e32 v7, 0xff, v13
	v_and_b32_e32 v14, 0xff00, v13
	;; [unrolled: 1-line block ×4, first 2 shown]
	v_or_b32_e32 v7, v7, v14
	v_or3_b32 v12, v12, 0, 0
	v_or3_b32 v13, v7, v15, v13
.LBB33_306:                             ;   in Loop: Header=BB33_282 Depth=1
	s_or_b64 exec, exec, s[4:5]
	v_cmp_gt_u32_e32 vcc, 8, v6
                                        ; implicit-def: $vgpr14_vgpr15
                                        ; implicit-def: $sgpr14
	s_and_saveexec_b64 s[4:5], vcc
	s_xor_b64 s[4:5], exec, s[4:5]
	s_cbranch_execz .LBB33_312
; %bb.307:                              ;   in Loop: Header=BB33_282 Depth=1
	v_cmp_ne_u32_e32 vcc, 0, v6
	v_pk_mov_b32 v[14:15], 0, 0
	s_and_saveexec_b64 s[14:15], vcc
	s_cbranch_execz .LBB33_311
; %bb.308:                              ;   in Loop: Header=BB33_282 Depth=1
	s_mov_b64 s[16:17], 0
	v_pk_mov_b32 v[14:15], 0, 0
	s_mov_b64 s[18:19], 0
	s_mov_b64 s[20:21], 0
.LBB33_309:                             ;   Parent Loop BB33_282 Depth=1
                                        ; =>  This Inner Loop Header: Depth=2
	v_mov_b32_e32 v7, s21
	v_add_co_u32_e32 v16, vcc, s20, v2
	v_addc_co_u32_e32 v17, vcc, v3, v7, vcc
	flat_load_ubyte v7, v[16:17]
	s_add_u32 s20, s20, 1
	v_mov_b32_e32 v17, s22
	s_addc_u32 s21, s21, 0
	v_cmp_eq_u32_e32 vcc, s20, v6
	s_waitcnt vmcnt(0) lgkmcnt(0)
	v_and_b32_e32 v16, 0xffff, v7
	v_lshlrev_b64 v[16:17], s18, v[16:17]
	s_add_u32 s18, s18, 8
	s_addc_u32 s19, s19, 0
	v_or_b32_e32 v15, v17, v15
	s_or_b64 s[16:17], vcc, s[16:17]
	v_or_b32_e32 v14, v16, v14
	s_andn2_b64 exec, exec, s[16:17]
	s_cbranch_execnz .LBB33_309
; %bb.310:                              ;   in Loop: Header=BB33_282 Depth=1
	s_or_b64 exec, exec, s[16:17]
.LBB33_311:                             ;   in Loop: Header=BB33_282 Depth=1
	s_or_b64 exec, exec, s[14:15]
	s_mov_b32 s14, 0
                                        ; implicit-def: $vgpr6
.LBB33_312:                             ;   in Loop: Header=BB33_282 Depth=1
	s_or_saveexec_b64 s[4:5], s[4:5]
	v_mov_b32_e32 v7, s14
	s_xor_b64 exec, exec, s[4:5]
	s_cbranch_execz .LBB33_314
; %bb.313:                              ;   in Loop: Header=BB33_282 Depth=1
	flat_load_dwordx2 v[14:15], v[2:3]
	v_add_u32_e32 v7, -8, v6
	v_add_co_u32_e32 v2, vcc, 8, v2
	v_addc_co_u32_e32 v3, vcc, 0, v3, vcc
	s_waitcnt vmcnt(0) lgkmcnt(0)
	v_and_b32_e32 v6, 0xff, v15
	v_and_b32_e32 v16, 0xff00, v15
	;; [unrolled: 1-line block ×4, first 2 shown]
	v_or_b32_e32 v6, v6, v16
	v_or3_b32 v14, v14, 0, 0
	v_or3_b32 v15, v6, v17, v15
.LBB33_314:                             ;   in Loop: Header=BB33_282 Depth=1
	s_or_b64 exec, exec, s[4:5]
	v_cmp_gt_u32_e32 vcc, 8, v7
                                        ; implicit-def: $sgpr14
	s_and_saveexec_b64 s[4:5], vcc
	s_xor_b64 s[4:5], exec, s[4:5]
	s_cbranch_execz .LBB33_320
; %bb.315:                              ;   in Loop: Header=BB33_282 Depth=1
	v_cmp_ne_u32_e32 vcc, 0, v7
	v_pk_mov_b32 v[16:17], 0, 0
	s_and_saveexec_b64 s[14:15], vcc
	s_cbranch_execz .LBB33_319
; %bb.316:                              ;   in Loop: Header=BB33_282 Depth=1
	s_mov_b64 s[16:17], 0
	v_pk_mov_b32 v[16:17], 0, 0
	s_mov_b64 s[18:19], 0
	s_mov_b64 s[20:21], 0
.LBB33_317:                             ;   Parent Loop BB33_282 Depth=1
                                        ; =>  This Inner Loop Header: Depth=2
	v_mov_b32_e32 v6, s21
	v_add_co_u32_e32 v18, vcc, s20, v2
	v_addc_co_u32_e32 v19, vcc, v3, v6, vcc
	flat_load_ubyte v6, v[18:19]
	s_add_u32 s20, s20, 1
	v_mov_b32_e32 v19, s22
	s_addc_u32 s21, s21, 0
	v_cmp_eq_u32_e32 vcc, s20, v7
	s_waitcnt vmcnt(0) lgkmcnt(0)
	v_and_b32_e32 v18, 0xffff, v6
	v_lshlrev_b64 v[18:19], s18, v[18:19]
	s_add_u32 s18, s18, 8
	s_addc_u32 s19, s19, 0
	v_or_b32_e32 v17, v19, v17
	s_or_b64 s[16:17], vcc, s[16:17]
	v_or_b32_e32 v16, v18, v16
	s_andn2_b64 exec, exec, s[16:17]
	s_cbranch_execnz .LBB33_317
; %bb.318:                              ;   in Loop: Header=BB33_282 Depth=1
	s_or_b64 exec, exec, s[16:17]
.LBB33_319:                             ;   in Loop: Header=BB33_282 Depth=1
	s_or_b64 exec, exec, s[14:15]
	s_mov_b32 s14, 0
                                        ; implicit-def: $vgpr7
.LBB33_320:                             ;   in Loop: Header=BB33_282 Depth=1
	s_or_saveexec_b64 s[4:5], s[4:5]
	v_mov_b32_e32 v6, s14
	s_xor_b64 exec, exec, s[4:5]
	s_cbranch_execz .LBB33_322
; %bb.321:                              ;   in Loop: Header=BB33_282 Depth=1
	flat_load_dwordx2 v[16:17], v[2:3]
	v_add_u32_e32 v6, -8, v7
	v_add_co_u32_e32 v2, vcc, 8, v2
	v_addc_co_u32_e32 v3, vcc, 0, v3, vcc
	s_waitcnt vmcnt(0) lgkmcnt(0)
	v_and_b32_e32 v7, 0xff, v17
	v_and_b32_e32 v18, 0xff00, v17
	;; [unrolled: 1-line block ×4, first 2 shown]
	v_or_b32_e32 v7, v7, v18
	v_or3_b32 v16, v16, 0, 0
	v_or3_b32 v17, v7, v19, v17
.LBB33_322:                             ;   in Loop: Header=BB33_282 Depth=1
	s_or_b64 exec, exec, s[4:5]
	v_cmp_gt_u32_e32 vcc, 8, v6
                                        ; implicit-def: $vgpr18_vgpr19
                                        ; implicit-def: $sgpr14
	s_and_saveexec_b64 s[4:5], vcc
	s_xor_b64 s[4:5], exec, s[4:5]
	s_cbranch_execz .LBB33_328
; %bb.323:                              ;   in Loop: Header=BB33_282 Depth=1
	v_cmp_ne_u32_e32 vcc, 0, v6
	v_pk_mov_b32 v[18:19], 0, 0
	s_and_saveexec_b64 s[14:15], vcc
	s_cbranch_execz .LBB33_327
; %bb.324:                              ;   in Loop: Header=BB33_282 Depth=1
	s_mov_b64 s[16:17], 0
	v_pk_mov_b32 v[18:19], 0, 0
	s_mov_b64 s[18:19], 0
	s_mov_b64 s[20:21], 0
.LBB33_325:                             ;   Parent Loop BB33_282 Depth=1
                                        ; =>  This Inner Loop Header: Depth=2
	v_mov_b32_e32 v7, s21
	v_add_co_u32_e32 v20, vcc, s20, v2
	v_addc_co_u32_e32 v21, vcc, v3, v7, vcc
	flat_load_ubyte v7, v[20:21]
	s_add_u32 s20, s20, 1
	v_mov_b32_e32 v21, s22
	s_addc_u32 s21, s21, 0
	v_cmp_eq_u32_e32 vcc, s20, v6
	s_waitcnt vmcnt(0) lgkmcnt(0)
	v_and_b32_e32 v20, 0xffff, v7
	v_lshlrev_b64 v[20:21], s18, v[20:21]
	s_add_u32 s18, s18, 8
	s_addc_u32 s19, s19, 0
	v_or_b32_e32 v19, v21, v19
	s_or_b64 s[16:17], vcc, s[16:17]
	v_or_b32_e32 v18, v20, v18
	s_andn2_b64 exec, exec, s[16:17]
	s_cbranch_execnz .LBB33_325
; %bb.326:                              ;   in Loop: Header=BB33_282 Depth=1
	s_or_b64 exec, exec, s[16:17]
.LBB33_327:                             ;   in Loop: Header=BB33_282 Depth=1
	s_or_b64 exec, exec, s[14:15]
	s_mov_b32 s14, 0
                                        ; implicit-def: $vgpr6
.LBB33_328:                             ;   in Loop: Header=BB33_282 Depth=1
	s_or_saveexec_b64 s[4:5], s[4:5]
	v_mov_b32_e32 v7, s14
	s_xor_b64 exec, exec, s[4:5]
	s_cbranch_execz .LBB33_330
; %bb.329:                              ;   in Loop: Header=BB33_282 Depth=1
	flat_load_dwordx2 v[18:19], v[2:3]
	v_add_u32_e32 v7, -8, v6
	v_add_co_u32_e32 v2, vcc, 8, v2
	v_addc_co_u32_e32 v3, vcc, 0, v3, vcc
	s_waitcnt vmcnt(0) lgkmcnt(0)
	v_and_b32_e32 v6, 0xff, v19
	v_and_b32_e32 v20, 0xff00, v19
	;; [unrolled: 1-line block ×4, first 2 shown]
	v_or_b32_e32 v6, v6, v20
	v_or3_b32 v18, v18, 0, 0
	v_or3_b32 v19, v6, v21, v19
.LBB33_330:                             ;   in Loop: Header=BB33_282 Depth=1
	s_or_b64 exec, exec, s[4:5]
	v_cmp_gt_u32_e32 vcc, 8, v7
	s_and_saveexec_b64 s[4:5], vcc
	s_xor_b64 s[4:5], exec, s[4:5]
	s_cbranch_execz .LBB33_336
; %bb.331:                              ;   in Loop: Header=BB33_282 Depth=1
	v_cmp_ne_u32_e32 vcc, 0, v7
	v_pk_mov_b32 v[20:21], 0, 0
	s_and_saveexec_b64 s[14:15], vcc
	s_cbranch_execz .LBB33_335
; %bb.332:                              ;   in Loop: Header=BB33_282 Depth=1
	s_mov_b64 s[16:17], 0
	v_pk_mov_b32 v[20:21], 0, 0
	s_mov_b64 s[18:19], 0
.LBB33_333:                             ;   Parent Loop BB33_282 Depth=1
                                        ; =>  This Inner Loop Header: Depth=2
	flat_load_ubyte v6, v[2:3]
	v_mov_b32_e32 v23, s22
	v_add_co_u32_e32 v2, vcc, 1, v2
	v_add_u32_e32 v7, -1, v7
	v_addc_co_u32_e32 v3, vcc, 0, v3, vcc
	v_cmp_eq_u32_e32 vcc, 0, v7
	s_waitcnt vmcnt(0) lgkmcnt(0)
	v_and_b32_e32 v22, 0xffff, v6
	v_lshlrev_b64 v[22:23], s18, v[22:23]
	s_add_u32 s18, s18, 8
	s_addc_u32 s19, s19, 0
	v_or_b32_e32 v21, v23, v21
	s_or_b64 s[16:17], vcc, s[16:17]
	v_or_b32_e32 v20, v22, v20
	s_andn2_b64 exec, exec, s[16:17]
	s_cbranch_execnz .LBB33_333
; %bb.334:                              ;   in Loop: Header=BB33_282 Depth=1
	s_or_b64 exec, exec, s[16:17]
.LBB33_335:                             ;   in Loop: Header=BB33_282 Depth=1
	s_or_b64 exec, exec, s[14:15]
                                        ; implicit-def: $vgpr2_vgpr3
.LBB33_336:                             ;   in Loop: Header=BB33_282 Depth=1
	s_andn2_saveexec_b64 s[4:5], s[4:5]
	s_cbranch_execz .LBB33_338
; %bb.337:                              ;   in Loop: Header=BB33_282 Depth=1
	flat_load_dwordx2 v[2:3], v[2:3]
	s_waitcnt vmcnt(0) lgkmcnt(0)
	v_and_b32_e32 v6, 0xff, v3
	v_and_b32_e32 v7, 0xff00, v3
	v_and_b32_e32 v20, 0xff0000, v3
	v_and_b32_e32 v3, 0xff000000, v3
	v_or_b32_e32 v6, v6, v7
	v_or3_b32 v21, v6, v20, v3
	v_or3_b32 v20, v2, 0, 0
.LBB33_338:                             ;   in Loop: Header=BB33_282 Depth=1
	s_or_b64 exec, exec, s[4:5]
	v_readfirstlane_b32 s4, v39
	v_cmp_eq_u32_e64 s[4:5], s4, v39
	v_pk_mov_b32 v[2:3], 0, 0
	s_and_saveexec_b64 s[14:15], s[4:5]
	s_cbranch_execz .LBB33_344
; %bb.339:                              ;   in Loop: Header=BB33_282 Depth=1
	global_load_dwordx2 v[24:25], v33, s[10:11] offset:24 glc
	s_waitcnt vmcnt(0)
	buffer_invl2
	buffer_wbinvl1_vol
	global_load_dwordx2 v[2:3], v33, s[10:11] offset:40
	global_load_dwordx2 v[6:7], v33, s[10:11]
	s_waitcnt vmcnt(1)
	v_and_b32_e32 v2, v2, v24
	v_and_b32_e32 v3, v3, v25
	v_mul_lo_u32 v3, v3, 24
	v_mul_hi_u32 v22, v2, 24
	v_mul_lo_u32 v2, v2, 24
	v_add_u32_e32 v3, v22, v3
	s_waitcnt vmcnt(0)
	v_add_co_u32_e32 v2, vcc, v6, v2
	v_addc_co_u32_e32 v3, vcc, v7, v3, vcc
	global_load_dwordx2 v[22:23], v[2:3], off glc
	s_waitcnt vmcnt(0)
	global_atomic_cmpswap_x2 v[2:3], v33, v[22:25], s[10:11] offset:24 glc
	s_waitcnt vmcnt(0)
	buffer_invl2
	buffer_wbinvl1_vol
	v_cmp_ne_u64_e32 vcc, v[2:3], v[24:25]
	s_and_saveexec_b64 s[16:17], vcc
	s_cbranch_execz .LBB33_343
; %bb.340:                              ;   in Loop: Header=BB33_282 Depth=1
	s_mov_b64 s[18:19], 0
.LBB33_341:                             ;   Parent Loop BB33_282 Depth=1
                                        ; =>  This Inner Loop Header: Depth=2
	s_sleep 1
	global_load_dwordx2 v[6:7], v33, s[10:11] offset:40
	global_load_dwordx2 v[22:23], v33, s[10:11]
	v_pk_mov_b32 v[24:25], v[2:3], v[2:3] op_sel:[0,1]
	s_waitcnt vmcnt(1)
	v_and_b32_e32 v2, v6, v24
	s_waitcnt vmcnt(0)
	v_mad_u64_u32 v[2:3], s[20:21], v2, 24, v[22:23]
	v_and_b32_e32 v7, v7, v25
	v_mov_b32_e32 v6, v3
	v_mad_u64_u32 v[6:7], s[20:21], v7, 24, v[6:7]
	v_mov_b32_e32 v3, v6
	global_load_dwordx2 v[22:23], v[2:3], off glc
	s_waitcnt vmcnt(0)
	global_atomic_cmpswap_x2 v[2:3], v33, v[22:25], s[10:11] offset:24 glc
	s_waitcnt vmcnt(0)
	buffer_invl2
	buffer_wbinvl1_vol
	v_cmp_eq_u64_e32 vcc, v[2:3], v[24:25]
	s_or_b64 s[18:19], vcc, s[18:19]
	s_andn2_b64 exec, exec, s[18:19]
	s_cbranch_execnz .LBB33_341
; %bb.342:                              ;   in Loop: Header=BB33_282 Depth=1
	s_or_b64 exec, exec, s[18:19]
.LBB33_343:                             ;   in Loop: Header=BB33_282 Depth=1
	s_or_b64 exec, exec, s[16:17]
.LBB33_344:                             ;   in Loop: Header=BB33_282 Depth=1
	s_or_b64 exec, exec, s[14:15]
	global_load_dwordx2 v[6:7], v33, s[10:11] offset:40
	global_load_dwordx4 v[22:25], v33, s[10:11]
	v_readfirstlane_b32 s14, v2
	v_readfirstlane_b32 s15, v3
	s_mov_b64 s[16:17], exec
	s_waitcnt vmcnt(1)
	v_readfirstlane_b32 s18, v6
	v_readfirstlane_b32 s19, v7
	s_and_b64 s[18:19], s[14:15], s[18:19]
	s_mul_i32 s20, s19, 24
	s_mul_hi_u32 s21, s18, 24
	s_mul_i32 s24, s18, 24
	s_add_i32 s20, s21, s20
	v_mov_b32_e32 v2, s20
	s_waitcnt vmcnt(0)
	v_add_co_u32_e32 v36, vcc, s24, v22
	v_addc_co_u32_e32 v37, vcc, v23, v2, vcc
	s_and_saveexec_b64 s[20:21], s[4:5]
	s_cbranch_execz .LBB33_346
; %bb.345:                              ;   in Loop: Header=BB33_282 Depth=1
	v_pk_mov_b32 v[2:3], s[16:17], s[16:17] op_sel:[0,1]
	global_store_dwordx4 v[36:37], v[2:5], off offset:8
.LBB33_346:                             ;   in Loop: Header=BB33_282 Depth=1
	s_or_b64 exec, exec, s[20:21]
	s_lshl_b64 s[16:17], s[18:19], 12
	v_mov_b32_e32 v2, s17
	v_add_co_u32_e32 v24, vcc, s16, v24
	v_addc_co_u32_e32 v25, vcc, v25, v2, vcc
	v_or_b32_e32 v2, 0, v1
	v_cmp_lt_u64_e32 vcc, 56, v[26:27]
	v_or_b32_e32 v3, v0, v28
	v_cndmask_b32_e32 v7, v2, v1, vcc
	v_lshl_add_u32 v1, v34, 2, 28
	v_cndmask_b32_e32 v0, v3, v0, vcc
	v_and_b32_e32 v1, 0x1e0, v1
	v_and_or_b32 v6, v0, s23, v1
	v_readfirstlane_b32 s16, v24
	v_readfirstlane_b32 s17, v25
	s_nop 4
	global_store_dwordx4 v38, v[6:9], s[16:17]
	global_store_dwordx4 v38, v[10:13], s[16:17] offset:16
	global_store_dwordx4 v38, v[14:17], s[16:17] offset:32
	;; [unrolled: 1-line block ×3, first 2 shown]
	s_and_saveexec_b64 s[16:17], s[4:5]
	s_cbranch_execz .LBB33_354
; %bb.347:                              ;   in Loop: Header=BB33_282 Depth=1
	global_load_dwordx2 v[10:11], v33, s[10:11] offset:32 glc
	global_load_dwordx2 v[0:1], v33, s[10:11] offset:40
	v_mov_b32_e32 v8, s14
	v_mov_b32_e32 v9, s15
	s_waitcnt vmcnt(0)
	v_readfirstlane_b32 s18, v0
	v_readfirstlane_b32 s19, v1
	s_and_b64 s[18:19], s[18:19], s[14:15]
	s_mul_i32 s19, s19, 24
	s_mul_hi_u32 s20, s18, 24
	s_mul_i32 s18, s18, 24
	s_add_i32 s19, s20, s19
	v_mov_b32_e32 v0, s19
	v_add_co_u32_e32 v6, vcc, s18, v22
	v_addc_co_u32_e32 v7, vcc, v23, v0, vcc
	global_store_dwordx2 v[6:7], v[10:11], off
	buffer_wbl2
	s_waitcnt vmcnt(0)
	global_atomic_cmpswap_x2 v[2:3], v33, v[8:11], s[10:11] offset:32 glc
	s_waitcnt vmcnt(0)
	v_cmp_ne_u64_e32 vcc, v[2:3], v[10:11]
	s_and_saveexec_b64 s[18:19], vcc
	s_cbranch_execz .LBB33_350
; %bb.348:                              ;   in Loop: Header=BB33_282 Depth=1
	s_mov_b64 s[20:21], 0
.LBB33_349:                             ;   Parent Loop BB33_282 Depth=1
                                        ; =>  This Inner Loop Header: Depth=2
	s_sleep 1
	global_store_dwordx2 v[6:7], v[2:3], off
	v_mov_b32_e32 v0, s14
	v_mov_b32_e32 v1, s15
	buffer_wbl2
	s_waitcnt vmcnt(0)
	global_atomic_cmpswap_x2 v[0:1], v33, v[0:3], s[10:11] offset:32 glc
	s_waitcnt vmcnt(0)
	v_cmp_eq_u64_e32 vcc, v[0:1], v[2:3]
	s_or_b64 s[20:21], vcc, s[20:21]
	v_pk_mov_b32 v[2:3], v[0:1], v[0:1] op_sel:[0,1]
	s_andn2_b64 exec, exec, s[20:21]
	s_cbranch_execnz .LBB33_349
.LBB33_350:                             ;   in Loop: Header=BB33_282 Depth=1
	s_or_b64 exec, exec, s[18:19]
	global_load_dwordx2 v[0:1], v33, s[10:11] offset:16
	s_mov_b64 s[20:21], exec
	v_mbcnt_lo_u32_b32 v2, s20, 0
	v_mbcnt_hi_u32_b32 v2, s21, v2
	v_cmp_eq_u32_e32 vcc, 0, v2
	s_and_saveexec_b64 s[18:19], vcc
	s_cbranch_execz .LBB33_352
; %bb.351:                              ;   in Loop: Header=BB33_282 Depth=1
	s_bcnt1_i32_b64 s20, s[20:21]
	v_mov_b32_e32 v32, s20
	buffer_wbl2
	s_waitcnt vmcnt(0)
	global_atomic_add_x2 v[0:1], v[32:33], off offset:8
.LBB33_352:                             ;   in Loop: Header=BB33_282 Depth=1
	s_or_b64 exec, exec, s[18:19]
	s_waitcnt vmcnt(0)
	global_load_dwordx2 v[2:3], v[0:1], off offset:16
	s_waitcnt vmcnt(0)
	v_cmp_eq_u64_e32 vcc, 0, v[2:3]
	s_cbranch_vccnz .LBB33_354
; %bb.353:                              ;   in Loop: Header=BB33_282 Depth=1
	global_load_dword v32, v[0:1], off offset:24
	s_waitcnt vmcnt(0)
	v_and_b32_e32 v0, 0xffffff, v32
	v_readfirstlane_b32 m0, v0
	buffer_wbl2
	global_store_dwordx2 v[2:3], v[32:33], off
	s_sendmsg sendmsg(MSG_INTERRUPT)
.LBB33_354:                             ;   in Loop: Header=BB33_282 Depth=1
	s_or_b64 exec, exec, s[16:17]
	v_add_co_u32_e32 v0, vcc, v24, v38
	v_addc_co_u32_e32 v1, vcc, 0, v25, vcc
	s_branch .LBB33_358
.LBB33_355:                             ;   in Loop: Header=BB33_358 Depth=2
	s_or_b64 exec, exec, s[16:17]
	v_readfirstlane_b32 s16, v2
	s_cmp_eq_u32 s16, 0
	s_cbranch_scc1 .LBB33_357
; %bb.356:                              ;   in Loop: Header=BB33_358 Depth=2
	s_sleep 1
	s_cbranch_execnz .LBB33_358
	s_branch .LBB33_360
.LBB33_357:                             ;   in Loop: Header=BB33_282 Depth=1
	s_branch .LBB33_360
.LBB33_358:                             ;   Parent Loop BB33_282 Depth=1
                                        ; =>  This Inner Loop Header: Depth=2
	v_mov_b32_e32 v2, 1
	s_and_saveexec_b64 s[16:17], s[4:5]
	s_cbranch_execz .LBB33_355
; %bb.359:                              ;   in Loop: Header=BB33_358 Depth=2
	global_load_dword v2, v[36:37], off offset:20 glc
	s_waitcnt vmcnt(0)
	buffer_invl2
	buffer_wbinvl1_vol
	v_and_b32_e32 v2, 1, v2
	s_branch .LBB33_355
.LBB33_360:                             ;   in Loop: Header=BB33_282 Depth=1
	global_load_dwordx4 v[0:3], v[0:1], off
	s_and_saveexec_b64 s[16:17], s[4:5]
	s_cbranch_execz .LBB33_281
; %bb.361:                              ;   in Loop: Header=BB33_282 Depth=1
	global_load_dwordx2 v[2:3], v33, s[10:11] offset:40
	global_load_dwordx2 v[10:11], v33, s[10:11] offset:24 glc
	global_load_dwordx2 v[12:13], v33, s[10:11]
	v_mov_b32_e32 v7, s15
	s_waitcnt vmcnt(2)
	v_add_co_u32_e32 v9, vcc, 1, v2
	v_addc_co_u32_e32 v14, vcc, 0, v3, vcc
	v_add_co_u32_e32 v6, vcc, s14, v9
	v_addc_co_u32_e32 v7, vcc, v14, v7, vcc
	v_cmp_eq_u64_e32 vcc, 0, v[6:7]
	v_cndmask_b32_e32 v7, v7, v14, vcc
	v_cndmask_b32_e32 v6, v6, v9, vcc
	v_and_b32_e32 v3, v7, v3
	v_and_b32_e32 v2, v6, v2
	v_mul_lo_u32 v3, v3, 24
	v_mul_hi_u32 v9, v2, 24
	v_mul_lo_u32 v2, v2, 24
	v_add_u32_e32 v3, v9, v3
	s_waitcnt vmcnt(0)
	v_add_co_u32_e32 v2, vcc, v12, v2
	v_addc_co_u32_e32 v3, vcc, v13, v3, vcc
	v_mov_b32_e32 v8, v10
	global_store_dwordx2 v[2:3], v[10:11], off
	v_mov_b32_e32 v9, v11
	buffer_wbl2
	s_waitcnt vmcnt(0)
	global_atomic_cmpswap_x2 v[8:9], v33, v[6:9], s[10:11] offset:24 glc
	s_waitcnt vmcnt(0)
	v_cmp_ne_u64_e32 vcc, v[8:9], v[10:11]
	s_and_b64 exec, exec, vcc
	s_cbranch_execz .LBB33_281
; %bb.362:                              ;   in Loop: Header=BB33_282 Depth=1
	s_mov_b64 s[4:5], 0
.LBB33_363:                             ;   Parent Loop BB33_282 Depth=1
                                        ; =>  This Inner Loop Header: Depth=2
	s_sleep 1
	global_store_dwordx2 v[2:3], v[8:9], off
	buffer_wbl2
	s_waitcnt vmcnt(0)
	global_atomic_cmpswap_x2 v[10:11], v33, v[6:9], s[10:11] offset:24 glc
	s_waitcnt vmcnt(0)
	v_cmp_eq_u64_e32 vcc, v[10:11], v[8:9]
	s_or_b64 s[4:5], vcc, s[4:5]
	v_pk_mov_b32 v[8:9], v[10:11], v[10:11] op_sel:[0,1]
	s_andn2_b64 exec, exec, s[4:5]
	s_cbranch_execnz .LBB33_363
	s_branch .LBB33_281
.LBB33_364:
	s_or_b64 exec, exec, s[6:7]
                                        ; implicit-def: $vgpr38
                                        ; implicit-def: $vgpr39
.LBB33_365:
	s_andn2_saveexec_b64 s[6:7], s[12:13]
	s_cbranch_execz .LBB33_392
; %bb.366:
	v_readfirstlane_b32 s4, v39
	v_cmp_eq_u32_e64 s[4:5], s4, v39
	v_pk_mov_b32 v[8:9], 0, 0
	s_and_saveexec_b64 s[12:13], s[4:5]
	s_cbranch_execz .LBB33_372
; %bb.367:
	s_waitcnt vmcnt(0)
	v_mov_b32_e32 v2, 0
	global_load_dwordx2 v[6:7], v2, s[10:11] offset:24 glc
	s_waitcnt vmcnt(0)
	buffer_invl2
	buffer_wbinvl1_vol
	global_load_dwordx2 v[4:5], v2, s[10:11] offset:40
	global_load_dwordx2 v[8:9], v2, s[10:11]
	s_waitcnt vmcnt(1)
	v_and_b32_e32 v3, v4, v6
	v_and_b32_e32 v4, v5, v7
	v_mul_lo_u32 v4, v4, 24
	v_mul_hi_u32 v5, v3, 24
	v_mul_lo_u32 v3, v3, 24
	v_add_u32_e32 v5, v5, v4
	s_waitcnt vmcnt(0)
	v_add_co_u32_e32 v4, vcc, v8, v3
	v_addc_co_u32_e32 v5, vcc, v9, v5, vcc
	global_load_dwordx2 v[4:5], v[4:5], off glc
	s_waitcnt vmcnt(0)
	global_atomic_cmpswap_x2 v[8:9], v2, v[4:7], s[10:11] offset:24 glc
	s_waitcnt vmcnt(0)
	buffer_invl2
	buffer_wbinvl1_vol
	v_cmp_ne_u64_e32 vcc, v[8:9], v[6:7]
	s_and_saveexec_b64 s[14:15], vcc
	s_cbranch_execz .LBB33_371
; %bb.368:
	s_mov_b64 s[16:17], 0
.LBB33_369:                             ; =>This Inner Loop Header: Depth=1
	s_sleep 1
	global_load_dwordx2 v[4:5], v2, s[10:11] offset:40
	global_load_dwordx2 v[10:11], v2, s[10:11]
	v_pk_mov_b32 v[6:7], v[8:9], v[8:9] op_sel:[0,1]
	s_waitcnt vmcnt(1)
	v_and_b32_e32 v4, v4, v6
	v_and_b32_e32 v3, v5, v7
	s_waitcnt vmcnt(0)
	v_mad_u64_u32 v[4:5], s[18:19], v4, 24, v[10:11]
	v_mov_b32_e32 v8, v5
	v_mad_u64_u32 v[8:9], s[18:19], v3, 24, v[8:9]
	v_mov_b32_e32 v5, v8
	global_load_dwordx2 v[4:5], v[4:5], off glc
	s_waitcnt vmcnt(0)
	global_atomic_cmpswap_x2 v[8:9], v2, v[4:7], s[10:11] offset:24 glc
	s_waitcnt vmcnt(0)
	buffer_invl2
	buffer_wbinvl1_vol
	v_cmp_eq_u64_e32 vcc, v[8:9], v[6:7]
	s_or_b64 s[16:17], vcc, s[16:17]
	s_andn2_b64 exec, exec, s[16:17]
	s_cbranch_execnz .LBB33_369
; %bb.370:
	s_or_b64 exec, exec, s[16:17]
.LBB33_371:
	s_or_b64 exec, exec, s[14:15]
.LBB33_372:
	s_or_b64 exec, exec, s[12:13]
	s_waitcnt vmcnt(0)
	v_mov_b32_e32 v2, 0
	global_load_dwordx2 v[10:11], v2, s[10:11] offset:40
	global_load_dwordx4 v[4:7], v2, s[10:11]
	v_readfirstlane_b32 s12, v8
	v_readfirstlane_b32 s13, v9
	s_mov_b64 s[14:15], exec
	s_waitcnt vmcnt(1)
	v_readfirstlane_b32 s16, v10
	v_readfirstlane_b32 s17, v11
	s_and_b64 s[16:17], s[12:13], s[16:17]
	s_mul_i32 s18, s17, 24
	s_mul_hi_u32 s19, s16, 24
	s_mul_i32 s20, s16, 24
	s_add_i32 s18, s19, s18
	v_mov_b32_e32 v3, s18
	s_waitcnt vmcnt(0)
	v_add_co_u32_e32 v8, vcc, s20, v4
	v_addc_co_u32_e32 v9, vcc, v5, v3, vcc
	s_and_saveexec_b64 s[18:19], s[4:5]
	s_cbranch_execz .LBB33_374
; %bb.373:
	v_pk_mov_b32 v[10:11], s[14:15], s[14:15] op_sel:[0,1]
	v_mov_b32_e32 v12, 2
	v_mov_b32_e32 v13, 1
	global_store_dwordx4 v[8:9], v[10:13], off offset:8
.LBB33_374:
	s_or_b64 exec, exec, s[18:19]
	s_lshl_b64 s[14:15], s[16:17], 12
	v_mov_b32_e32 v3, s15
	v_add_co_u32_e32 v10, vcc, s14, v6
	v_addc_co_u32_e32 v11, vcc, v7, v3, vcc
	s_movk_i32 s14, 0xff1f
	s_mov_b32 s16, 0
	v_and_or_b32 v0, v0, s14, 32
	v_mov_b32_e32 v3, v2
	v_readfirstlane_b32 s14, v10
	v_readfirstlane_b32 s15, v11
	s_mov_b32 s17, s16
	v_add_co_u32_e32 v6, vcc, v10, v38
	s_mov_b32 s18, s16
	s_mov_b32 s19, s16
	s_nop 0
	global_store_dwordx4 v38, v[0:3], s[14:15]
	v_addc_co_u32_e32 v7, vcc, 0, v11, vcc
	v_pk_mov_b32 v[0:1], s[16:17], s[16:17] op_sel:[0,1]
	v_pk_mov_b32 v[2:3], s[18:19], s[18:19] op_sel:[0,1]
	global_store_dwordx4 v38, v[0:3], s[14:15] offset:16
	global_store_dwordx4 v38, v[0:3], s[14:15] offset:32
	;; [unrolled: 1-line block ×3, first 2 shown]
	s_and_saveexec_b64 s[14:15], s[4:5]
	s_cbranch_execz .LBB33_382
; %bb.375:
	v_mov_b32_e32 v10, 0
	global_load_dwordx2 v[14:15], v10, s[10:11] offset:32 glc
	global_load_dwordx2 v[0:1], v10, s[10:11] offset:40
	v_mov_b32_e32 v12, s12
	v_mov_b32_e32 v13, s13
	s_waitcnt vmcnt(0)
	v_readfirstlane_b32 s16, v0
	v_readfirstlane_b32 s17, v1
	s_and_b64 s[16:17], s[16:17], s[12:13]
	s_mul_i32 s17, s17, 24
	s_mul_hi_u32 s18, s16, 24
	s_mul_i32 s16, s16, 24
	s_add_i32 s17, s18, s17
	v_mov_b32_e32 v0, s17
	v_add_co_u32_e32 v4, vcc, s16, v4
	v_addc_co_u32_e32 v5, vcc, v5, v0, vcc
	global_store_dwordx2 v[4:5], v[14:15], off
	buffer_wbl2
	s_waitcnt vmcnt(0)
	global_atomic_cmpswap_x2 v[2:3], v10, v[12:15], s[10:11] offset:32 glc
	s_waitcnt vmcnt(0)
	v_cmp_ne_u64_e32 vcc, v[2:3], v[14:15]
	s_and_saveexec_b64 s[16:17], vcc
	s_cbranch_execz .LBB33_378
; %bb.376:
	s_mov_b64 s[18:19], 0
.LBB33_377:                             ; =>This Inner Loop Header: Depth=1
	s_sleep 1
	global_store_dwordx2 v[4:5], v[2:3], off
	v_mov_b32_e32 v0, s12
	v_mov_b32_e32 v1, s13
	buffer_wbl2
	s_waitcnt vmcnt(0)
	global_atomic_cmpswap_x2 v[0:1], v10, v[0:3], s[10:11] offset:32 glc
	s_waitcnt vmcnt(0)
	v_cmp_eq_u64_e32 vcc, v[0:1], v[2:3]
	s_or_b64 s[18:19], vcc, s[18:19]
	v_pk_mov_b32 v[2:3], v[0:1], v[0:1] op_sel:[0,1]
	s_andn2_b64 exec, exec, s[18:19]
	s_cbranch_execnz .LBB33_377
.LBB33_378:
	s_or_b64 exec, exec, s[16:17]
	v_mov_b32_e32 v3, 0
	global_load_dwordx2 v[0:1], v3, s[10:11] offset:16
	s_mov_b64 s[16:17], exec
	v_mbcnt_lo_u32_b32 v2, s16, 0
	v_mbcnt_hi_u32_b32 v2, s17, v2
	v_cmp_eq_u32_e32 vcc, 0, v2
	s_and_saveexec_b64 s[18:19], vcc
	s_cbranch_execz .LBB33_380
; %bb.379:
	s_bcnt1_i32_b64 s16, s[16:17]
	v_mov_b32_e32 v2, s16
	buffer_wbl2
	s_waitcnt vmcnt(0)
	global_atomic_add_x2 v[0:1], v[2:3], off offset:8
.LBB33_380:
	s_or_b64 exec, exec, s[18:19]
	s_waitcnt vmcnt(0)
	global_load_dwordx2 v[2:3], v[0:1], off offset:16
	s_waitcnt vmcnt(0)
	v_cmp_eq_u64_e32 vcc, 0, v[2:3]
	s_cbranch_vccnz .LBB33_382
; %bb.381:
	global_load_dword v0, v[0:1], off offset:24
	v_mov_b32_e32 v1, 0
	buffer_wbl2
	s_waitcnt vmcnt(0)
	global_store_dwordx2 v[2:3], v[0:1], off
	v_and_b32_e32 v0, 0xffffff, v0
	v_readfirstlane_b32 m0, v0
	s_sendmsg sendmsg(MSG_INTERRUPT)
.LBB33_382:
	s_or_b64 exec, exec, s[14:15]
	s_branch .LBB33_386
.LBB33_383:                             ;   in Loop: Header=BB33_386 Depth=1
	s_or_b64 exec, exec, s[14:15]
	v_readfirstlane_b32 s14, v0
	s_cmp_eq_u32 s14, 0
	s_cbranch_scc1 .LBB33_385
; %bb.384:                              ;   in Loop: Header=BB33_386 Depth=1
	s_sleep 1
	s_cbranch_execnz .LBB33_386
	s_branch .LBB33_388
.LBB33_385:
	s_branch .LBB33_388
.LBB33_386:                             ; =>This Inner Loop Header: Depth=1
	v_mov_b32_e32 v0, 1
	s_and_saveexec_b64 s[14:15], s[4:5]
	s_cbranch_execz .LBB33_383
; %bb.387:                              ;   in Loop: Header=BB33_386 Depth=1
	global_load_dword v0, v[8:9], off offset:20 glc
	s_waitcnt vmcnt(0)
	buffer_invl2
	buffer_wbinvl1_vol
	v_and_b32_e32 v0, 1, v0
	s_branch .LBB33_383
.LBB33_388:
	global_load_dwordx2 v[0:1], v[6:7], off
	s_and_saveexec_b64 s[14:15], s[4:5]
	s_cbranch_execz .LBB33_391
; %bb.389:
	v_mov_b32_e32 v8, 0
	global_load_dwordx2 v[6:7], v8, s[10:11] offset:40
	global_load_dwordx2 v[10:11], v8, s[10:11] offset:24 glc
	global_load_dwordx2 v[12:13], v8, s[10:11]
	v_mov_b32_e32 v3, s13
	s_mov_b64 s[4:5], 0
	s_waitcnt vmcnt(2)
	v_add_co_u32_e32 v5, vcc, 1, v6
	v_addc_co_u32_e32 v9, vcc, 0, v7, vcc
	v_add_co_u32_e32 v2, vcc, s12, v5
	v_addc_co_u32_e32 v3, vcc, v9, v3, vcc
	v_cmp_eq_u64_e32 vcc, 0, v[2:3]
	v_cndmask_b32_e32 v3, v3, v9, vcc
	v_cndmask_b32_e32 v2, v2, v5, vcc
	v_and_b32_e32 v5, v3, v7
	v_and_b32_e32 v6, v2, v6
	v_mul_lo_u32 v5, v5, 24
	v_mul_hi_u32 v7, v6, 24
	v_mul_lo_u32 v6, v6, 24
	v_add_u32_e32 v5, v7, v5
	s_waitcnt vmcnt(0)
	v_add_co_u32_e32 v6, vcc, v12, v6
	v_addc_co_u32_e32 v7, vcc, v13, v5, vcc
	v_mov_b32_e32 v4, v10
	global_store_dwordx2 v[6:7], v[10:11], off
	v_mov_b32_e32 v5, v11
	buffer_wbl2
	s_waitcnt vmcnt(0)
	global_atomic_cmpswap_x2 v[4:5], v8, v[2:5], s[10:11] offset:24 glc
	s_waitcnt vmcnt(0)
	v_cmp_ne_u64_e32 vcc, v[4:5], v[10:11]
	s_and_b64 exec, exec, vcc
	s_cbranch_execz .LBB33_391
.LBB33_390:                             ; =>This Inner Loop Header: Depth=1
	s_sleep 1
	global_store_dwordx2 v[6:7], v[4:5], off
	buffer_wbl2
	s_waitcnt vmcnt(0)
	global_atomic_cmpswap_x2 v[10:11], v8, v[2:5], s[10:11] offset:24 glc
	s_waitcnt vmcnt(0)
	v_cmp_eq_u64_e32 vcc, v[10:11], v[4:5]
	s_or_b64 s[4:5], vcc, s[4:5]
	v_pk_mov_b32 v[4:5], v[10:11], v[10:11] op_sel:[0,1]
	s_andn2_b64 exec, exec, s[4:5]
	s_cbranch_execnz .LBB33_390
.LBB33_391:
	s_or_b64 exec, exec, s[14:15]
.LBB33_392:
	s_or_b64 exec, exec, s[6:7]
	s_getpc_b64 s[4:5]
	s_add_u32 s4, s4, .str.1@rel32@lo+4
	s_addc_u32 s5, s5, .str.1@rel32@hi+12
	s_getpc_b64 s[6:7]
	s_add_u32 s6, s6, .str.1@rel32@lo+10
	s_addc_u32 s7, s7, .str.1@rel32@hi+18
	s_sub_i32 s10, s6, s4
	s_ashr_i32 s11, s10, 31
	s_waitcnt vmcnt(0)
	v_mov_b32_e32 v2, s4
	v_mov_b32_e32 v3, s5
	;; [unrolled: 1-line block ×5, first 2 shown]
	s_getpc_b64 s[6:7]
	s_add_u32 s6, s6, __ockl_fprintf_append_string_n@rel32@lo+4
	s_addc_u32 s7, s7, __ockl_fprintf_append_string_n@rel32@hi+12
	s_swappc_b64 s[30:31], s[6:7]
	s_trap 2
.Lfunc_end33:
	.size	__assert_fail, .Lfunc_end33-__assert_fail
                                        ; -- End function
	.section	.AMDGPU.csdata,"",@progbits
; Function info:
; codeLenInByte = 15344
; NumSgprs: 38
; NumVgprs: 49
; NumAgprs: 0
; TotalNumVgprs: 49
; ScratchSize: 64
; MemoryBound: 0
	.section	.text._Z17wvSplitKQ_hf_sml_I6__halfN3c1013Float8_e4m3fnELi64ELi2ELi16ELi16ELi2ELi1EEviiiPKT0_S5_PT_PKfS9_ii,"axG",@progbits,_Z17wvSplitKQ_hf_sml_I6__halfN3c1013Float8_e4m3fnELi64ELi2ELi16ELi16ELi2ELi1EEviiiPKT0_S5_PT_PKfS9_ii,comdat
	.protected	_Z17wvSplitKQ_hf_sml_I6__halfN3c1013Float8_e4m3fnELi64ELi2ELi16ELi16ELi2ELi1EEviiiPKT0_S5_PT_PKfS9_ii ; -- Begin function _Z17wvSplitKQ_hf_sml_I6__halfN3c1013Float8_e4m3fnELi64ELi2ELi16ELi16ELi2ELi1EEviiiPKT0_S5_PT_PKfS9_ii
	.globl	_Z17wvSplitKQ_hf_sml_I6__halfN3c1013Float8_e4m3fnELi64ELi2ELi16ELi16ELi2ELi1EEviiiPKT0_S5_PT_PKfS9_ii
	.p2align	8
	.type	_Z17wvSplitKQ_hf_sml_I6__halfN3c1013Float8_e4m3fnELi64ELi2ELi16ELi16ELi2ELi1EEviiiPKT0_S5_PT_PKfS9_ii,@function
_Z17wvSplitKQ_hf_sml_I6__halfN3c1013Float8_e4m3fnELi64ELi2ELi16ELi16ELi2ELi1EEviiiPKT0_S5_PT_PKfS9_ii: ; @_Z17wvSplitKQ_hf_sml_I6__halfN3c1013Float8_e4m3fnELi64ELi2ELi16ELi16ELi2ELi1EEviiiPKT0_S5_PT_PKfS9_ii
; %bb.0:
	s_add_u32 flat_scratch_lo, s6, s9
	s_addc_u32 flat_scratch_hi, s7, 0
	s_add_u32 s0, s0, s9
	s_addc_u32 s1, s1, 0
	s_add_u32 s8, s4, 64
	s_addc_u32 s9, s5, 0
	s_getpc_b64 s[4:5]
	s_add_u32 s4, s4, __PRETTY_FUNCTION__._Z17wvSplitKQ_hf_sml_I6__halfN3c1013Float8_e4m3fnELi64ELi2ELi16ELi16ELi2ELi1EEviiiPKT0_S5_PT_PKfS9_ii@rel32@lo+4
	s_addc_u32 s5, s5, __PRETTY_FUNCTION__._Z17wvSplitKQ_hf_sml_I6__halfN3c1013Float8_e4m3fnELi64ELi2ELi16ELi16ELi2ELi1EEviiiPKT0_S5_PT_PKfS9_ii@rel32@hi+12
	v_mov_b32_e32 v0, 0x5c1
	v_mov_b32_e32 v1, s4
	;; [unrolled: 1-line block ×3, first 2 shown]
	s_mov_b32 s32, 0
	s_getpc_b64 s[6:7]
	s_add_u32 s6, s6, __assert_fail@rel32@lo+4
	s_addc_u32 s7, s7, __assert_fail@rel32@hi+12
	s_swappc_b64 s[30:31], s[6:7]
	.section	.rodata,"a",@progbits
	.p2align	6, 0x0
	.amdhsa_kernel _Z17wvSplitKQ_hf_sml_I6__halfN3c1013Float8_e4m3fnELi64ELi2ELi16ELi16ELi2ELi1EEviiiPKT0_S5_PT_PKfS9_ii
		.amdhsa_group_segment_fixed_size 0
		.amdhsa_private_segment_fixed_size 64
		.amdhsa_kernarg_size 320
		.amdhsa_user_sgpr_count 8
		.amdhsa_user_sgpr_private_segment_buffer 1
		.amdhsa_user_sgpr_dispatch_ptr 0
		.amdhsa_user_sgpr_queue_ptr 0
		.amdhsa_user_sgpr_kernarg_segment_ptr 1
		.amdhsa_user_sgpr_dispatch_id 0
		.amdhsa_user_sgpr_flat_scratch_init 1
		.amdhsa_user_sgpr_kernarg_preload_length 0
		.amdhsa_user_sgpr_kernarg_preload_offset 0
		.amdhsa_user_sgpr_private_segment_size 0
		.amdhsa_uses_dynamic_stack 0
		.amdhsa_system_sgpr_private_segment_wavefront_offset 1
		.amdhsa_system_sgpr_workgroup_id_x 1
		.amdhsa_system_sgpr_workgroup_id_y 0
		.amdhsa_system_sgpr_workgroup_id_z 0
		.amdhsa_system_sgpr_workgroup_info 0
		.amdhsa_system_vgpr_workitem_id 0
		.amdhsa_next_free_vgpr 49
		.amdhsa_next_free_sgpr 34
		.amdhsa_accum_offset 52
		.amdhsa_reserve_vcc 1
		.amdhsa_reserve_flat_scratch 1
		.amdhsa_float_round_mode_32 0
		.amdhsa_float_round_mode_16_64 0
		.amdhsa_float_denorm_mode_32 3
		.amdhsa_float_denorm_mode_16_64 3
		.amdhsa_dx10_clamp 1
		.amdhsa_ieee_mode 1
		.amdhsa_fp16_overflow 0
		.amdhsa_tg_split 0
		.amdhsa_exception_fp_ieee_invalid_op 0
		.amdhsa_exception_fp_denorm_src 0
		.amdhsa_exception_fp_ieee_div_zero 0
		.amdhsa_exception_fp_ieee_overflow 0
		.amdhsa_exception_fp_ieee_underflow 0
		.amdhsa_exception_fp_ieee_inexact 0
		.amdhsa_exception_int_div_zero 0
	.end_amdhsa_kernel
	.section	.text._Z17wvSplitKQ_hf_sml_I6__halfN3c1013Float8_e4m3fnELi64ELi2ELi16ELi16ELi2ELi1EEviiiPKT0_S5_PT_PKfS9_ii,"axG",@progbits,_Z17wvSplitKQ_hf_sml_I6__halfN3c1013Float8_e4m3fnELi64ELi2ELi16ELi16ELi2ELi1EEviiiPKT0_S5_PT_PKfS9_ii,comdat
.Lfunc_end34:
	.size	_Z17wvSplitKQ_hf_sml_I6__halfN3c1013Float8_e4m3fnELi64ELi2ELi16ELi16ELi2ELi1EEviiiPKT0_S5_PT_PKfS9_ii, .Lfunc_end34-_Z17wvSplitKQ_hf_sml_I6__halfN3c1013Float8_e4m3fnELi64ELi2ELi16ELi16ELi2ELi1EEviiiPKT0_S5_PT_PKfS9_ii
                                        ; -- End function
	.section	.AMDGPU.csdata,"",@progbits
; Kernel info:
; codeLenInByte = 88
; NumSgprs: 40
; NumVgprs: 49
; NumAgprs: 0
; TotalNumVgprs: 49
; ScratchSize: 64
; MemoryBound: 0
; FloatMode: 240
; IeeeMode: 1
; LDSByteSize: 0 bytes/workgroup (compile time only)
; SGPRBlocks: 4
; VGPRBlocks: 6
; NumSGPRsForWavesPerEU: 40
; NumVGPRsForWavesPerEU: 49
; AccumOffset: 52
; Occupancy: 8
; WaveLimiterHint : 1
; COMPUTE_PGM_RSRC2:SCRATCH_EN: 1
; COMPUTE_PGM_RSRC2:USER_SGPR: 8
; COMPUTE_PGM_RSRC2:TRAP_HANDLER: 0
; COMPUTE_PGM_RSRC2:TGID_X_EN: 1
; COMPUTE_PGM_RSRC2:TGID_Y_EN: 0
; COMPUTE_PGM_RSRC2:TGID_Z_EN: 0
; COMPUTE_PGM_RSRC2:TIDIG_COMP_CNT: 0
; COMPUTE_PGM_RSRC3_GFX90A:ACCUM_OFFSET: 12
; COMPUTE_PGM_RSRC3_GFX90A:TG_SPLIT: 0
	.section	.text._Z13wvSplitKQ_hf_I6__halfN3c1013Float8_e4m3fnELi64ELi2ELi16ELi16ELi2ELi1EEviiiPKT0_S5_PT_PKfS9_ii,"axG",@progbits,_Z13wvSplitKQ_hf_I6__halfN3c1013Float8_e4m3fnELi64ELi2ELi16ELi16ELi2ELi1EEviiiPKT0_S5_PT_PKfS9_ii,comdat
	.protected	_Z13wvSplitKQ_hf_I6__halfN3c1013Float8_e4m3fnELi64ELi2ELi16ELi16ELi2ELi1EEviiiPKT0_S5_PT_PKfS9_ii ; -- Begin function _Z13wvSplitKQ_hf_I6__halfN3c1013Float8_e4m3fnELi64ELi2ELi16ELi16ELi2ELi1EEviiiPKT0_S5_PT_PKfS9_ii
	.globl	_Z13wvSplitKQ_hf_I6__halfN3c1013Float8_e4m3fnELi64ELi2ELi16ELi16ELi2ELi1EEviiiPKT0_S5_PT_PKfS9_ii
	.p2align	8
	.type	_Z13wvSplitKQ_hf_I6__halfN3c1013Float8_e4m3fnELi64ELi2ELi16ELi16ELi2ELi1EEviiiPKT0_S5_PT_PKfS9_ii,@function
_Z13wvSplitKQ_hf_I6__halfN3c1013Float8_e4m3fnELi64ELi2ELi16ELi16ELi2ELi1EEviiiPKT0_S5_PT_PKfS9_ii: ; @_Z13wvSplitKQ_hf_I6__halfN3c1013Float8_e4m3fnELi64ELi2ELi16ELi16ELi2ELi1EEviiiPKT0_S5_PT_PKfS9_ii
; %bb.0:
	s_add_u32 flat_scratch_lo, s6, s9
	s_addc_u32 flat_scratch_hi, s7, 0
	s_add_u32 s0, s0, s9
	s_addc_u32 s1, s1, 0
	s_add_u32 s8, s4, 64
	s_addc_u32 s9, s5, 0
	s_getpc_b64 s[4:5]
	s_add_u32 s4, s4, __PRETTY_FUNCTION__._Z13wvSplitKQ_hf_I6__halfN3c1013Float8_e4m3fnELi64ELi2ELi16ELi16ELi2ELi1EEviiiPKT0_S5_PT_PKfS9_ii@rel32@lo+4
	s_addc_u32 s5, s5, __PRETTY_FUNCTION__._Z13wvSplitKQ_hf_I6__halfN3c1013Float8_e4m3fnELi64ELi2ELi16ELi16ELi2ELi1EEviiiPKT0_S5_PT_PKfS9_ii@rel32@hi+12
	v_mov_b32_e32 v0, 0x66e
	v_mov_b32_e32 v1, s4
	;; [unrolled: 1-line block ×3, first 2 shown]
	s_mov_b32 s32, 0
	s_getpc_b64 s[6:7]
	s_add_u32 s6, s6, __assert_fail@rel32@lo+4
	s_addc_u32 s7, s7, __assert_fail@rel32@hi+12
	s_swappc_b64 s[30:31], s[6:7]
	.section	.rodata,"a",@progbits
	.p2align	6, 0x0
	.amdhsa_kernel _Z13wvSplitKQ_hf_I6__halfN3c1013Float8_e4m3fnELi64ELi2ELi16ELi16ELi2ELi1EEviiiPKT0_S5_PT_PKfS9_ii
		.amdhsa_group_segment_fixed_size 0
		.amdhsa_private_segment_fixed_size 64
		.amdhsa_kernarg_size 320
		.amdhsa_user_sgpr_count 8
		.amdhsa_user_sgpr_private_segment_buffer 1
		.amdhsa_user_sgpr_dispatch_ptr 0
		.amdhsa_user_sgpr_queue_ptr 0
		.amdhsa_user_sgpr_kernarg_segment_ptr 1
		.amdhsa_user_sgpr_dispatch_id 0
		.amdhsa_user_sgpr_flat_scratch_init 1
		.amdhsa_user_sgpr_kernarg_preload_length 0
		.amdhsa_user_sgpr_kernarg_preload_offset 0
		.amdhsa_user_sgpr_private_segment_size 0
		.amdhsa_uses_dynamic_stack 0
		.amdhsa_system_sgpr_private_segment_wavefront_offset 1
		.amdhsa_system_sgpr_workgroup_id_x 1
		.amdhsa_system_sgpr_workgroup_id_y 0
		.amdhsa_system_sgpr_workgroup_id_z 0
		.amdhsa_system_sgpr_workgroup_info 0
		.amdhsa_system_vgpr_workitem_id 0
		.amdhsa_next_free_vgpr 49
		.amdhsa_next_free_sgpr 34
		.amdhsa_accum_offset 52
		.amdhsa_reserve_vcc 1
		.amdhsa_reserve_flat_scratch 1
		.amdhsa_float_round_mode_32 0
		.amdhsa_float_round_mode_16_64 0
		.amdhsa_float_denorm_mode_32 3
		.amdhsa_float_denorm_mode_16_64 3
		.amdhsa_dx10_clamp 1
		.amdhsa_ieee_mode 1
		.amdhsa_fp16_overflow 0
		.amdhsa_tg_split 0
		.amdhsa_exception_fp_ieee_invalid_op 0
		.amdhsa_exception_fp_denorm_src 0
		.amdhsa_exception_fp_ieee_div_zero 0
		.amdhsa_exception_fp_ieee_overflow 0
		.amdhsa_exception_fp_ieee_underflow 0
		.amdhsa_exception_fp_ieee_inexact 0
		.amdhsa_exception_int_div_zero 0
	.end_amdhsa_kernel
	.section	.text._Z13wvSplitKQ_hf_I6__halfN3c1013Float8_e4m3fnELi64ELi2ELi16ELi16ELi2ELi1EEviiiPKT0_S5_PT_PKfS9_ii,"axG",@progbits,_Z13wvSplitKQ_hf_I6__halfN3c1013Float8_e4m3fnELi64ELi2ELi16ELi16ELi2ELi1EEviiiPKT0_S5_PT_PKfS9_ii,comdat
.Lfunc_end35:
	.size	_Z13wvSplitKQ_hf_I6__halfN3c1013Float8_e4m3fnELi64ELi2ELi16ELi16ELi2ELi1EEviiiPKT0_S5_PT_PKfS9_ii, .Lfunc_end35-_Z13wvSplitKQ_hf_I6__halfN3c1013Float8_e4m3fnELi64ELi2ELi16ELi16ELi2ELi1EEviiiPKT0_S5_PT_PKfS9_ii
                                        ; -- End function
	.section	.AMDGPU.csdata,"",@progbits
; Kernel info:
; codeLenInByte = 88
; NumSgprs: 40
; NumVgprs: 49
; NumAgprs: 0
; TotalNumVgprs: 49
; ScratchSize: 64
; MemoryBound: 0
; FloatMode: 240
; IeeeMode: 1
; LDSByteSize: 0 bytes/workgroup (compile time only)
; SGPRBlocks: 4
; VGPRBlocks: 6
; NumSGPRsForWavesPerEU: 40
; NumVGPRsForWavesPerEU: 49
; AccumOffset: 52
; Occupancy: 8
; WaveLimiterHint : 1
; COMPUTE_PGM_RSRC2:SCRATCH_EN: 1
; COMPUTE_PGM_RSRC2:USER_SGPR: 8
; COMPUTE_PGM_RSRC2:TRAP_HANDLER: 0
; COMPUTE_PGM_RSRC2:TGID_X_EN: 1
; COMPUTE_PGM_RSRC2:TGID_Y_EN: 0
; COMPUTE_PGM_RSRC2:TGID_Z_EN: 0
; COMPUTE_PGM_RSRC2:TIDIG_COMP_CNT: 0
; COMPUTE_PGM_RSRC3_GFX90A:ACCUM_OFFSET: 12
; COMPUTE_PGM_RSRC3_GFX90A:TG_SPLIT: 0
	.section	.text._Z17wvSplitKQ_hf_sml_I6__halfN3c1013Float8_e4m3fnELi64ELi2ELi16ELi16ELi2ELi2EEviiiPKT0_S5_PT_PKfS9_ii,"axG",@progbits,_Z17wvSplitKQ_hf_sml_I6__halfN3c1013Float8_e4m3fnELi64ELi2ELi16ELi16ELi2ELi2EEviiiPKT0_S5_PT_PKfS9_ii,comdat
	.protected	_Z17wvSplitKQ_hf_sml_I6__halfN3c1013Float8_e4m3fnELi64ELi2ELi16ELi16ELi2ELi2EEviiiPKT0_S5_PT_PKfS9_ii ; -- Begin function _Z17wvSplitKQ_hf_sml_I6__halfN3c1013Float8_e4m3fnELi64ELi2ELi16ELi16ELi2ELi2EEviiiPKT0_S5_PT_PKfS9_ii
	.globl	_Z17wvSplitKQ_hf_sml_I6__halfN3c1013Float8_e4m3fnELi64ELi2ELi16ELi16ELi2ELi2EEviiiPKT0_S5_PT_PKfS9_ii
	.p2align	8
	.type	_Z17wvSplitKQ_hf_sml_I6__halfN3c1013Float8_e4m3fnELi64ELi2ELi16ELi16ELi2ELi2EEviiiPKT0_S5_PT_PKfS9_ii,@function
_Z17wvSplitKQ_hf_sml_I6__halfN3c1013Float8_e4m3fnELi64ELi2ELi16ELi16ELi2ELi2EEviiiPKT0_S5_PT_PKfS9_ii: ; @_Z17wvSplitKQ_hf_sml_I6__halfN3c1013Float8_e4m3fnELi64ELi2ELi16ELi16ELi2ELi2EEviiiPKT0_S5_PT_PKfS9_ii
; %bb.0:
	s_add_u32 flat_scratch_lo, s6, s9
	s_addc_u32 flat_scratch_hi, s7, 0
	s_add_u32 s0, s0, s9
	s_addc_u32 s1, s1, 0
	s_add_u32 s8, s4, 64
	s_addc_u32 s9, s5, 0
	s_getpc_b64 s[4:5]
	s_add_u32 s4, s4, __PRETTY_FUNCTION__._Z17wvSplitKQ_hf_sml_I6__halfN3c1013Float8_e4m3fnELi64ELi2ELi16ELi16ELi2ELi2EEviiiPKT0_S5_PT_PKfS9_ii@rel32@lo+4
	s_addc_u32 s5, s5, __PRETTY_FUNCTION__._Z17wvSplitKQ_hf_sml_I6__halfN3c1013Float8_e4m3fnELi64ELi2ELi16ELi16ELi2ELi2EEviiiPKT0_S5_PT_PKfS9_ii@rel32@hi+12
	v_mov_b32_e32 v0, 0x5c1
	v_mov_b32_e32 v1, s4
	;; [unrolled: 1-line block ×3, first 2 shown]
	s_mov_b32 s32, 0
	s_getpc_b64 s[6:7]
	s_add_u32 s6, s6, __assert_fail@rel32@lo+4
	s_addc_u32 s7, s7, __assert_fail@rel32@hi+12
	s_swappc_b64 s[30:31], s[6:7]
	.section	.rodata,"a",@progbits
	.p2align	6, 0x0
	.amdhsa_kernel _Z17wvSplitKQ_hf_sml_I6__halfN3c1013Float8_e4m3fnELi64ELi2ELi16ELi16ELi2ELi2EEviiiPKT0_S5_PT_PKfS9_ii
		.amdhsa_group_segment_fixed_size 0
		.amdhsa_private_segment_fixed_size 64
		.amdhsa_kernarg_size 320
		.amdhsa_user_sgpr_count 8
		.amdhsa_user_sgpr_private_segment_buffer 1
		.amdhsa_user_sgpr_dispatch_ptr 0
		.amdhsa_user_sgpr_queue_ptr 0
		.amdhsa_user_sgpr_kernarg_segment_ptr 1
		.amdhsa_user_sgpr_dispatch_id 0
		.amdhsa_user_sgpr_flat_scratch_init 1
		.amdhsa_user_sgpr_kernarg_preload_length 0
		.amdhsa_user_sgpr_kernarg_preload_offset 0
		.amdhsa_user_sgpr_private_segment_size 0
		.amdhsa_uses_dynamic_stack 0
		.amdhsa_system_sgpr_private_segment_wavefront_offset 1
		.amdhsa_system_sgpr_workgroup_id_x 1
		.amdhsa_system_sgpr_workgroup_id_y 0
		.amdhsa_system_sgpr_workgroup_id_z 0
		.amdhsa_system_sgpr_workgroup_info 0
		.amdhsa_system_vgpr_workitem_id 0
		.amdhsa_next_free_vgpr 49
		.amdhsa_next_free_sgpr 34
		.amdhsa_accum_offset 52
		.amdhsa_reserve_vcc 1
		.amdhsa_reserve_flat_scratch 1
		.amdhsa_float_round_mode_32 0
		.amdhsa_float_round_mode_16_64 0
		.amdhsa_float_denorm_mode_32 3
		.amdhsa_float_denorm_mode_16_64 3
		.amdhsa_dx10_clamp 1
		.amdhsa_ieee_mode 1
		.amdhsa_fp16_overflow 0
		.amdhsa_tg_split 0
		.amdhsa_exception_fp_ieee_invalid_op 0
		.amdhsa_exception_fp_denorm_src 0
		.amdhsa_exception_fp_ieee_div_zero 0
		.amdhsa_exception_fp_ieee_overflow 0
		.amdhsa_exception_fp_ieee_underflow 0
		.amdhsa_exception_fp_ieee_inexact 0
		.amdhsa_exception_int_div_zero 0
	.end_amdhsa_kernel
	.section	.text._Z17wvSplitKQ_hf_sml_I6__halfN3c1013Float8_e4m3fnELi64ELi2ELi16ELi16ELi2ELi2EEviiiPKT0_S5_PT_PKfS9_ii,"axG",@progbits,_Z17wvSplitKQ_hf_sml_I6__halfN3c1013Float8_e4m3fnELi64ELi2ELi16ELi16ELi2ELi2EEviiiPKT0_S5_PT_PKfS9_ii,comdat
.Lfunc_end36:
	.size	_Z17wvSplitKQ_hf_sml_I6__halfN3c1013Float8_e4m3fnELi64ELi2ELi16ELi16ELi2ELi2EEviiiPKT0_S5_PT_PKfS9_ii, .Lfunc_end36-_Z17wvSplitKQ_hf_sml_I6__halfN3c1013Float8_e4m3fnELi64ELi2ELi16ELi16ELi2ELi2EEviiiPKT0_S5_PT_PKfS9_ii
                                        ; -- End function
	.section	.AMDGPU.csdata,"",@progbits
; Kernel info:
; codeLenInByte = 88
; NumSgprs: 40
; NumVgprs: 49
; NumAgprs: 0
; TotalNumVgprs: 49
; ScratchSize: 64
; MemoryBound: 0
; FloatMode: 240
; IeeeMode: 1
; LDSByteSize: 0 bytes/workgroup (compile time only)
; SGPRBlocks: 4
; VGPRBlocks: 6
; NumSGPRsForWavesPerEU: 40
; NumVGPRsForWavesPerEU: 49
; AccumOffset: 52
; Occupancy: 8
; WaveLimiterHint : 1
; COMPUTE_PGM_RSRC2:SCRATCH_EN: 1
; COMPUTE_PGM_RSRC2:USER_SGPR: 8
; COMPUTE_PGM_RSRC2:TRAP_HANDLER: 0
; COMPUTE_PGM_RSRC2:TGID_X_EN: 1
; COMPUTE_PGM_RSRC2:TGID_Y_EN: 0
; COMPUTE_PGM_RSRC2:TGID_Z_EN: 0
; COMPUTE_PGM_RSRC2:TIDIG_COMP_CNT: 0
; COMPUTE_PGM_RSRC3_GFX90A:ACCUM_OFFSET: 12
; COMPUTE_PGM_RSRC3_GFX90A:TG_SPLIT: 0
	.section	.text._Z13wvSplitKQ_hf_I6__halfN3c1013Float8_e4m3fnELi64ELi2ELi16ELi16ELi2ELi2EEviiiPKT0_S5_PT_PKfS9_ii,"axG",@progbits,_Z13wvSplitKQ_hf_I6__halfN3c1013Float8_e4m3fnELi64ELi2ELi16ELi16ELi2ELi2EEviiiPKT0_S5_PT_PKfS9_ii,comdat
	.protected	_Z13wvSplitKQ_hf_I6__halfN3c1013Float8_e4m3fnELi64ELi2ELi16ELi16ELi2ELi2EEviiiPKT0_S5_PT_PKfS9_ii ; -- Begin function _Z13wvSplitKQ_hf_I6__halfN3c1013Float8_e4m3fnELi64ELi2ELi16ELi16ELi2ELi2EEviiiPKT0_S5_PT_PKfS9_ii
	.globl	_Z13wvSplitKQ_hf_I6__halfN3c1013Float8_e4m3fnELi64ELi2ELi16ELi16ELi2ELi2EEviiiPKT0_S5_PT_PKfS9_ii
	.p2align	8
	.type	_Z13wvSplitKQ_hf_I6__halfN3c1013Float8_e4m3fnELi64ELi2ELi16ELi16ELi2ELi2EEviiiPKT0_S5_PT_PKfS9_ii,@function
_Z13wvSplitKQ_hf_I6__halfN3c1013Float8_e4m3fnELi64ELi2ELi16ELi16ELi2ELi2EEviiiPKT0_S5_PT_PKfS9_ii: ; @_Z13wvSplitKQ_hf_I6__halfN3c1013Float8_e4m3fnELi64ELi2ELi16ELi16ELi2ELi2EEviiiPKT0_S5_PT_PKfS9_ii
; %bb.0:
	s_add_u32 flat_scratch_lo, s6, s9
	s_addc_u32 flat_scratch_hi, s7, 0
	s_add_u32 s0, s0, s9
	s_addc_u32 s1, s1, 0
	s_add_u32 s8, s4, 64
	s_addc_u32 s9, s5, 0
	s_getpc_b64 s[4:5]
	s_add_u32 s4, s4, __PRETTY_FUNCTION__._Z13wvSplitKQ_hf_I6__halfN3c1013Float8_e4m3fnELi64ELi2ELi16ELi16ELi2ELi2EEviiiPKT0_S5_PT_PKfS9_ii@rel32@lo+4
	s_addc_u32 s5, s5, __PRETTY_FUNCTION__._Z13wvSplitKQ_hf_I6__halfN3c1013Float8_e4m3fnELi64ELi2ELi16ELi16ELi2ELi2EEviiiPKT0_S5_PT_PKfS9_ii@rel32@hi+12
	v_mov_b32_e32 v0, 0x66e
	v_mov_b32_e32 v1, s4
	;; [unrolled: 1-line block ×3, first 2 shown]
	s_mov_b32 s32, 0
	s_getpc_b64 s[6:7]
	s_add_u32 s6, s6, __assert_fail@rel32@lo+4
	s_addc_u32 s7, s7, __assert_fail@rel32@hi+12
	s_swappc_b64 s[30:31], s[6:7]
	.section	.rodata,"a",@progbits
	.p2align	6, 0x0
	.amdhsa_kernel _Z13wvSplitKQ_hf_I6__halfN3c1013Float8_e4m3fnELi64ELi2ELi16ELi16ELi2ELi2EEviiiPKT0_S5_PT_PKfS9_ii
		.amdhsa_group_segment_fixed_size 0
		.amdhsa_private_segment_fixed_size 64
		.amdhsa_kernarg_size 320
		.amdhsa_user_sgpr_count 8
		.amdhsa_user_sgpr_private_segment_buffer 1
		.amdhsa_user_sgpr_dispatch_ptr 0
		.amdhsa_user_sgpr_queue_ptr 0
		.amdhsa_user_sgpr_kernarg_segment_ptr 1
		.amdhsa_user_sgpr_dispatch_id 0
		.amdhsa_user_sgpr_flat_scratch_init 1
		.amdhsa_user_sgpr_kernarg_preload_length 0
		.amdhsa_user_sgpr_kernarg_preload_offset 0
		.amdhsa_user_sgpr_private_segment_size 0
		.amdhsa_uses_dynamic_stack 0
		.amdhsa_system_sgpr_private_segment_wavefront_offset 1
		.amdhsa_system_sgpr_workgroup_id_x 1
		.amdhsa_system_sgpr_workgroup_id_y 0
		.amdhsa_system_sgpr_workgroup_id_z 0
		.amdhsa_system_sgpr_workgroup_info 0
		.amdhsa_system_vgpr_workitem_id 0
		.amdhsa_next_free_vgpr 49
		.amdhsa_next_free_sgpr 34
		.amdhsa_accum_offset 52
		.amdhsa_reserve_vcc 1
		.amdhsa_reserve_flat_scratch 1
		.amdhsa_float_round_mode_32 0
		.amdhsa_float_round_mode_16_64 0
		.amdhsa_float_denorm_mode_32 3
		.amdhsa_float_denorm_mode_16_64 3
		.amdhsa_dx10_clamp 1
		.amdhsa_ieee_mode 1
		.amdhsa_fp16_overflow 0
		.amdhsa_tg_split 0
		.amdhsa_exception_fp_ieee_invalid_op 0
		.amdhsa_exception_fp_denorm_src 0
		.amdhsa_exception_fp_ieee_div_zero 0
		.amdhsa_exception_fp_ieee_overflow 0
		.amdhsa_exception_fp_ieee_underflow 0
		.amdhsa_exception_fp_ieee_inexact 0
		.amdhsa_exception_int_div_zero 0
	.end_amdhsa_kernel
	.section	.text._Z13wvSplitKQ_hf_I6__halfN3c1013Float8_e4m3fnELi64ELi2ELi16ELi16ELi2ELi2EEviiiPKT0_S5_PT_PKfS9_ii,"axG",@progbits,_Z13wvSplitKQ_hf_I6__halfN3c1013Float8_e4m3fnELi64ELi2ELi16ELi16ELi2ELi2EEviiiPKT0_S5_PT_PKfS9_ii,comdat
.Lfunc_end37:
	.size	_Z13wvSplitKQ_hf_I6__halfN3c1013Float8_e4m3fnELi64ELi2ELi16ELi16ELi2ELi2EEviiiPKT0_S5_PT_PKfS9_ii, .Lfunc_end37-_Z13wvSplitKQ_hf_I6__halfN3c1013Float8_e4m3fnELi64ELi2ELi16ELi16ELi2ELi2EEviiiPKT0_S5_PT_PKfS9_ii
                                        ; -- End function
	.section	.AMDGPU.csdata,"",@progbits
; Kernel info:
; codeLenInByte = 88
; NumSgprs: 40
; NumVgprs: 49
; NumAgprs: 0
; TotalNumVgprs: 49
; ScratchSize: 64
; MemoryBound: 0
; FloatMode: 240
; IeeeMode: 1
; LDSByteSize: 0 bytes/workgroup (compile time only)
; SGPRBlocks: 4
; VGPRBlocks: 6
; NumSGPRsForWavesPerEU: 40
; NumVGPRsForWavesPerEU: 49
; AccumOffset: 52
; Occupancy: 8
; WaveLimiterHint : 1
; COMPUTE_PGM_RSRC2:SCRATCH_EN: 1
; COMPUTE_PGM_RSRC2:USER_SGPR: 8
; COMPUTE_PGM_RSRC2:TRAP_HANDLER: 0
; COMPUTE_PGM_RSRC2:TGID_X_EN: 1
; COMPUTE_PGM_RSRC2:TGID_Y_EN: 0
; COMPUTE_PGM_RSRC2:TGID_Z_EN: 0
; COMPUTE_PGM_RSRC2:TIDIG_COMP_CNT: 0
; COMPUTE_PGM_RSRC3_GFX90A:ACCUM_OFFSET: 12
; COMPUTE_PGM_RSRC3_GFX90A:TG_SPLIT: 0
	.section	.text._Z17wvSplitKQ_hf_sml_I6__halfN3c1013Float8_e4m3fnELi64ELi4ELi16ELi16ELi1ELi3EEviiiPKT0_S5_PT_PKfS9_ii,"axG",@progbits,_Z17wvSplitKQ_hf_sml_I6__halfN3c1013Float8_e4m3fnELi64ELi4ELi16ELi16ELi1ELi3EEviiiPKT0_S5_PT_PKfS9_ii,comdat
	.protected	_Z17wvSplitKQ_hf_sml_I6__halfN3c1013Float8_e4m3fnELi64ELi4ELi16ELi16ELi1ELi3EEviiiPKT0_S5_PT_PKfS9_ii ; -- Begin function _Z17wvSplitKQ_hf_sml_I6__halfN3c1013Float8_e4m3fnELi64ELi4ELi16ELi16ELi1ELi3EEviiiPKT0_S5_PT_PKfS9_ii
	.globl	_Z17wvSplitKQ_hf_sml_I6__halfN3c1013Float8_e4m3fnELi64ELi4ELi16ELi16ELi1ELi3EEviiiPKT0_S5_PT_PKfS9_ii
	.p2align	8
	.type	_Z17wvSplitKQ_hf_sml_I6__halfN3c1013Float8_e4m3fnELi64ELi4ELi16ELi16ELi1ELi3EEviiiPKT0_S5_PT_PKfS9_ii,@function
_Z17wvSplitKQ_hf_sml_I6__halfN3c1013Float8_e4m3fnELi64ELi4ELi16ELi16ELi1ELi3EEviiiPKT0_S5_PT_PKfS9_ii: ; @_Z17wvSplitKQ_hf_sml_I6__halfN3c1013Float8_e4m3fnELi64ELi4ELi16ELi16ELi1ELi3EEviiiPKT0_S5_PT_PKfS9_ii
; %bb.0:
	s_add_u32 flat_scratch_lo, s6, s9
	s_addc_u32 flat_scratch_hi, s7, 0
	s_add_u32 s0, s0, s9
	s_addc_u32 s1, s1, 0
	s_add_u32 s8, s4, 64
	s_addc_u32 s9, s5, 0
	s_getpc_b64 s[4:5]
	s_add_u32 s4, s4, __PRETTY_FUNCTION__._Z17wvSplitKQ_hf_sml_I6__halfN3c1013Float8_e4m3fnELi64ELi4ELi16ELi16ELi1ELi3EEviiiPKT0_S5_PT_PKfS9_ii@rel32@lo+4
	s_addc_u32 s5, s5, __PRETTY_FUNCTION__._Z17wvSplitKQ_hf_sml_I6__halfN3c1013Float8_e4m3fnELi64ELi4ELi16ELi16ELi1ELi3EEviiiPKT0_S5_PT_PKfS9_ii@rel32@hi+12
	v_mov_b32_e32 v0, 0x5c1
	v_mov_b32_e32 v1, s4
	;; [unrolled: 1-line block ×3, first 2 shown]
	s_mov_b32 s32, 0
	s_getpc_b64 s[6:7]
	s_add_u32 s6, s6, __assert_fail@rel32@lo+4
	s_addc_u32 s7, s7, __assert_fail@rel32@hi+12
	s_swappc_b64 s[30:31], s[6:7]
	.section	.rodata,"a",@progbits
	.p2align	6, 0x0
	.amdhsa_kernel _Z17wvSplitKQ_hf_sml_I6__halfN3c1013Float8_e4m3fnELi64ELi4ELi16ELi16ELi1ELi3EEviiiPKT0_S5_PT_PKfS9_ii
		.amdhsa_group_segment_fixed_size 0
		.amdhsa_private_segment_fixed_size 64
		.amdhsa_kernarg_size 320
		.amdhsa_user_sgpr_count 8
		.amdhsa_user_sgpr_private_segment_buffer 1
		.amdhsa_user_sgpr_dispatch_ptr 0
		.amdhsa_user_sgpr_queue_ptr 0
		.amdhsa_user_sgpr_kernarg_segment_ptr 1
		.amdhsa_user_sgpr_dispatch_id 0
		.amdhsa_user_sgpr_flat_scratch_init 1
		.amdhsa_user_sgpr_kernarg_preload_length 0
		.amdhsa_user_sgpr_kernarg_preload_offset 0
		.amdhsa_user_sgpr_private_segment_size 0
		.amdhsa_uses_dynamic_stack 0
		.amdhsa_system_sgpr_private_segment_wavefront_offset 1
		.amdhsa_system_sgpr_workgroup_id_x 1
		.amdhsa_system_sgpr_workgroup_id_y 0
		.amdhsa_system_sgpr_workgroup_id_z 0
		.amdhsa_system_sgpr_workgroup_info 0
		.amdhsa_system_vgpr_workitem_id 0
		.amdhsa_next_free_vgpr 49
		.amdhsa_next_free_sgpr 34
		.amdhsa_accum_offset 52
		.amdhsa_reserve_vcc 1
		.amdhsa_reserve_flat_scratch 1
		.amdhsa_float_round_mode_32 0
		.amdhsa_float_round_mode_16_64 0
		.amdhsa_float_denorm_mode_32 3
		.amdhsa_float_denorm_mode_16_64 3
		.amdhsa_dx10_clamp 1
		.amdhsa_ieee_mode 1
		.amdhsa_fp16_overflow 0
		.amdhsa_tg_split 0
		.amdhsa_exception_fp_ieee_invalid_op 0
		.amdhsa_exception_fp_denorm_src 0
		.amdhsa_exception_fp_ieee_div_zero 0
		.amdhsa_exception_fp_ieee_overflow 0
		.amdhsa_exception_fp_ieee_underflow 0
		.amdhsa_exception_fp_ieee_inexact 0
		.amdhsa_exception_int_div_zero 0
	.end_amdhsa_kernel
	.section	.text._Z17wvSplitKQ_hf_sml_I6__halfN3c1013Float8_e4m3fnELi64ELi4ELi16ELi16ELi1ELi3EEviiiPKT0_S5_PT_PKfS9_ii,"axG",@progbits,_Z17wvSplitKQ_hf_sml_I6__halfN3c1013Float8_e4m3fnELi64ELi4ELi16ELi16ELi1ELi3EEviiiPKT0_S5_PT_PKfS9_ii,comdat
.Lfunc_end38:
	.size	_Z17wvSplitKQ_hf_sml_I6__halfN3c1013Float8_e4m3fnELi64ELi4ELi16ELi16ELi1ELi3EEviiiPKT0_S5_PT_PKfS9_ii, .Lfunc_end38-_Z17wvSplitKQ_hf_sml_I6__halfN3c1013Float8_e4m3fnELi64ELi4ELi16ELi16ELi1ELi3EEviiiPKT0_S5_PT_PKfS9_ii
                                        ; -- End function
	.section	.AMDGPU.csdata,"",@progbits
; Kernel info:
; codeLenInByte = 88
; NumSgprs: 40
; NumVgprs: 49
; NumAgprs: 0
; TotalNumVgprs: 49
; ScratchSize: 64
; MemoryBound: 0
; FloatMode: 240
; IeeeMode: 1
; LDSByteSize: 0 bytes/workgroup (compile time only)
; SGPRBlocks: 4
; VGPRBlocks: 6
; NumSGPRsForWavesPerEU: 40
; NumVGPRsForWavesPerEU: 49
; AccumOffset: 52
; Occupancy: 8
; WaveLimiterHint : 1
; COMPUTE_PGM_RSRC2:SCRATCH_EN: 1
; COMPUTE_PGM_RSRC2:USER_SGPR: 8
; COMPUTE_PGM_RSRC2:TRAP_HANDLER: 0
; COMPUTE_PGM_RSRC2:TGID_X_EN: 1
; COMPUTE_PGM_RSRC2:TGID_Y_EN: 0
; COMPUTE_PGM_RSRC2:TGID_Z_EN: 0
; COMPUTE_PGM_RSRC2:TIDIG_COMP_CNT: 0
; COMPUTE_PGM_RSRC3_GFX90A:ACCUM_OFFSET: 12
; COMPUTE_PGM_RSRC3_GFX90A:TG_SPLIT: 0
	.section	.text._Z13wvSplitKQ_hf_I6__halfN3c1013Float8_e4m3fnELi64ELi7ELi16ELi16ELi1ELi3EEviiiPKT0_S5_PT_PKfS9_ii,"axG",@progbits,_Z13wvSplitKQ_hf_I6__halfN3c1013Float8_e4m3fnELi64ELi7ELi16ELi16ELi1ELi3EEviiiPKT0_S5_PT_PKfS9_ii,comdat
	.protected	_Z13wvSplitKQ_hf_I6__halfN3c1013Float8_e4m3fnELi64ELi7ELi16ELi16ELi1ELi3EEviiiPKT0_S5_PT_PKfS9_ii ; -- Begin function _Z13wvSplitKQ_hf_I6__halfN3c1013Float8_e4m3fnELi64ELi7ELi16ELi16ELi1ELi3EEviiiPKT0_S5_PT_PKfS9_ii
	.globl	_Z13wvSplitKQ_hf_I6__halfN3c1013Float8_e4m3fnELi64ELi7ELi16ELi16ELi1ELi3EEviiiPKT0_S5_PT_PKfS9_ii
	.p2align	8
	.type	_Z13wvSplitKQ_hf_I6__halfN3c1013Float8_e4m3fnELi64ELi7ELi16ELi16ELi1ELi3EEviiiPKT0_S5_PT_PKfS9_ii,@function
_Z13wvSplitKQ_hf_I6__halfN3c1013Float8_e4m3fnELi64ELi7ELi16ELi16ELi1ELi3EEviiiPKT0_S5_PT_PKfS9_ii: ; @_Z13wvSplitKQ_hf_I6__halfN3c1013Float8_e4m3fnELi64ELi7ELi16ELi16ELi1ELi3EEviiiPKT0_S5_PT_PKfS9_ii
; %bb.0:
	s_add_u32 flat_scratch_lo, s6, s9
	s_addc_u32 flat_scratch_hi, s7, 0
	s_add_u32 s0, s0, s9
	s_addc_u32 s1, s1, 0
	s_add_u32 s8, s4, 64
	s_addc_u32 s9, s5, 0
	s_getpc_b64 s[4:5]
	s_add_u32 s4, s4, __PRETTY_FUNCTION__._Z13wvSplitKQ_hf_I6__halfN3c1013Float8_e4m3fnELi64ELi7ELi16ELi16ELi1ELi3EEviiiPKT0_S5_PT_PKfS9_ii@rel32@lo+4
	s_addc_u32 s5, s5, __PRETTY_FUNCTION__._Z13wvSplitKQ_hf_I6__halfN3c1013Float8_e4m3fnELi64ELi7ELi16ELi16ELi1ELi3EEviiiPKT0_S5_PT_PKfS9_ii@rel32@hi+12
	v_mov_b32_e32 v0, 0x66e
	v_mov_b32_e32 v1, s4
	v_mov_b32_e32 v2, s5
	s_mov_b32 s32, 0
	s_getpc_b64 s[6:7]
	s_add_u32 s6, s6, __assert_fail@rel32@lo+4
	s_addc_u32 s7, s7, __assert_fail@rel32@hi+12
	s_swappc_b64 s[30:31], s[6:7]
	.section	.rodata,"a",@progbits
	.p2align	6, 0x0
	.amdhsa_kernel _Z13wvSplitKQ_hf_I6__halfN3c1013Float8_e4m3fnELi64ELi7ELi16ELi16ELi1ELi3EEviiiPKT0_S5_PT_PKfS9_ii
		.amdhsa_group_segment_fixed_size 0
		.amdhsa_private_segment_fixed_size 64
		.amdhsa_kernarg_size 320
		.amdhsa_user_sgpr_count 8
		.amdhsa_user_sgpr_private_segment_buffer 1
		.amdhsa_user_sgpr_dispatch_ptr 0
		.amdhsa_user_sgpr_queue_ptr 0
		.amdhsa_user_sgpr_kernarg_segment_ptr 1
		.amdhsa_user_sgpr_dispatch_id 0
		.amdhsa_user_sgpr_flat_scratch_init 1
		.amdhsa_user_sgpr_kernarg_preload_length 0
		.amdhsa_user_sgpr_kernarg_preload_offset 0
		.amdhsa_user_sgpr_private_segment_size 0
		.amdhsa_uses_dynamic_stack 0
		.amdhsa_system_sgpr_private_segment_wavefront_offset 1
		.amdhsa_system_sgpr_workgroup_id_x 1
		.amdhsa_system_sgpr_workgroup_id_y 0
		.amdhsa_system_sgpr_workgroup_id_z 0
		.amdhsa_system_sgpr_workgroup_info 0
		.amdhsa_system_vgpr_workitem_id 0
		.amdhsa_next_free_vgpr 49
		.amdhsa_next_free_sgpr 34
		.amdhsa_accum_offset 52
		.amdhsa_reserve_vcc 1
		.amdhsa_reserve_flat_scratch 1
		.amdhsa_float_round_mode_32 0
		.amdhsa_float_round_mode_16_64 0
		.amdhsa_float_denorm_mode_32 3
		.amdhsa_float_denorm_mode_16_64 3
		.amdhsa_dx10_clamp 1
		.amdhsa_ieee_mode 1
		.amdhsa_fp16_overflow 0
		.amdhsa_tg_split 0
		.amdhsa_exception_fp_ieee_invalid_op 0
		.amdhsa_exception_fp_denorm_src 0
		.amdhsa_exception_fp_ieee_div_zero 0
		.amdhsa_exception_fp_ieee_overflow 0
		.amdhsa_exception_fp_ieee_underflow 0
		.amdhsa_exception_fp_ieee_inexact 0
		.amdhsa_exception_int_div_zero 0
	.end_amdhsa_kernel
	.section	.text._Z13wvSplitKQ_hf_I6__halfN3c1013Float8_e4m3fnELi64ELi7ELi16ELi16ELi1ELi3EEviiiPKT0_S5_PT_PKfS9_ii,"axG",@progbits,_Z13wvSplitKQ_hf_I6__halfN3c1013Float8_e4m3fnELi64ELi7ELi16ELi16ELi1ELi3EEviiiPKT0_S5_PT_PKfS9_ii,comdat
.Lfunc_end39:
	.size	_Z13wvSplitKQ_hf_I6__halfN3c1013Float8_e4m3fnELi64ELi7ELi16ELi16ELi1ELi3EEviiiPKT0_S5_PT_PKfS9_ii, .Lfunc_end39-_Z13wvSplitKQ_hf_I6__halfN3c1013Float8_e4m3fnELi64ELi7ELi16ELi16ELi1ELi3EEviiiPKT0_S5_PT_PKfS9_ii
                                        ; -- End function
	.section	.AMDGPU.csdata,"",@progbits
; Kernel info:
; codeLenInByte = 88
; NumSgprs: 40
; NumVgprs: 49
; NumAgprs: 0
; TotalNumVgprs: 49
; ScratchSize: 64
; MemoryBound: 0
; FloatMode: 240
; IeeeMode: 1
; LDSByteSize: 0 bytes/workgroup (compile time only)
; SGPRBlocks: 4
; VGPRBlocks: 6
; NumSGPRsForWavesPerEU: 40
; NumVGPRsForWavesPerEU: 49
; AccumOffset: 52
; Occupancy: 8
; WaveLimiterHint : 1
; COMPUTE_PGM_RSRC2:SCRATCH_EN: 1
; COMPUTE_PGM_RSRC2:USER_SGPR: 8
; COMPUTE_PGM_RSRC2:TRAP_HANDLER: 0
; COMPUTE_PGM_RSRC2:TGID_X_EN: 1
; COMPUTE_PGM_RSRC2:TGID_Y_EN: 0
; COMPUTE_PGM_RSRC2:TGID_Z_EN: 0
; COMPUTE_PGM_RSRC2:TIDIG_COMP_CNT: 0
; COMPUTE_PGM_RSRC3_GFX90A:ACCUM_OFFSET: 12
; COMPUTE_PGM_RSRC3_GFX90A:TG_SPLIT: 0
	.section	.text._Z17wvSplitKQ_hf_sml_I6__halfN3c1013Float8_e4m3fnELi64ELi4ELi16ELi16ELi1ELi4EEviiiPKT0_S5_PT_PKfS9_ii,"axG",@progbits,_Z17wvSplitKQ_hf_sml_I6__halfN3c1013Float8_e4m3fnELi64ELi4ELi16ELi16ELi1ELi4EEviiiPKT0_S5_PT_PKfS9_ii,comdat
	.protected	_Z17wvSplitKQ_hf_sml_I6__halfN3c1013Float8_e4m3fnELi64ELi4ELi16ELi16ELi1ELi4EEviiiPKT0_S5_PT_PKfS9_ii ; -- Begin function _Z17wvSplitKQ_hf_sml_I6__halfN3c1013Float8_e4m3fnELi64ELi4ELi16ELi16ELi1ELi4EEviiiPKT0_S5_PT_PKfS9_ii
	.globl	_Z17wvSplitKQ_hf_sml_I6__halfN3c1013Float8_e4m3fnELi64ELi4ELi16ELi16ELi1ELi4EEviiiPKT0_S5_PT_PKfS9_ii
	.p2align	8
	.type	_Z17wvSplitKQ_hf_sml_I6__halfN3c1013Float8_e4m3fnELi64ELi4ELi16ELi16ELi1ELi4EEviiiPKT0_S5_PT_PKfS9_ii,@function
_Z17wvSplitKQ_hf_sml_I6__halfN3c1013Float8_e4m3fnELi64ELi4ELi16ELi16ELi1ELi4EEviiiPKT0_S5_PT_PKfS9_ii: ; @_Z17wvSplitKQ_hf_sml_I6__halfN3c1013Float8_e4m3fnELi64ELi4ELi16ELi16ELi1ELi4EEviiiPKT0_S5_PT_PKfS9_ii
; %bb.0:
	s_add_u32 flat_scratch_lo, s6, s9
	s_addc_u32 flat_scratch_hi, s7, 0
	s_add_u32 s0, s0, s9
	s_addc_u32 s1, s1, 0
	s_add_u32 s8, s4, 64
	s_addc_u32 s9, s5, 0
	s_getpc_b64 s[4:5]
	s_add_u32 s4, s4, __PRETTY_FUNCTION__._Z17wvSplitKQ_hf_sml_I6__halfN3c1013Float8_e4m3fnELi64ELi4ELi16ELi16ELi1ELi4EEviiiPKT0_S5_PT_PKfS9_ii@rel32@lo+4
	s_addc_u32 s5, s5, __PRETTY_FUNCTION__._Z17wvSplitKQ_hf_sml_I6__halfN3c1013Float8_e4m3fnELi64ELi4ELi16ELi16ELi1ELi4EEviiiPKT0_S5_PT_PKfS9_ii@rel32@hi+12
	v_mov_b32_e32 v0, 0x5c1
	v_mov_b32_e32 v1, s4
	;; [unrolled: 1-line block ×3, first 2 shown]
	s_mov_b32 s32, 0
	s_getpc_b64 s[6:7]
	s_add_u32 s6, s6, __assert_fail@rel32@lo+4
	s_addc_u32 s7, s7, __assert_fail@rel32@hi+12
	s_swappc_b64 s[30:31], s[6:7]
	.section	.rodata,"a",@progbits
	.p2align	6, 0x0
	.amdhsa_kernel _Z17wvSplitKQ_hf_sml_I6__halfN3c1013Float8_e4m3fnELi64ELi4ELi16ELi16ELi1ELi4EEviiiPKT0_S5_PT_PKfS9_ii
		.amdhsa_group_segment_fixed_size 0
		.amdhsa_private_segment_fixed_size 64
		.amdhsa_kernarg_size 320
		.amdhsa_user_sgpr_count 8
		.amdhsa_user_sgpr_private_segment_buffer 1
		.amdhsa_user_sgpr_dispatch_ptr 0
		.amdhsa_user_sgpr_queue_ptr 0
		.amdhsa_user_sgpr_kernarg_segment_ptr 1
		.amdhsa_user_sgpr_dispatch_id 0
		.amdhsa_user_sgpr_flat_scratch_init 1
		.amdhsa_user_sgpr_kernarg_preload_length 0
		.amdhsa_user_sgpr_kernarg_preload_offset 0
		.amdhsa_user_sgpr_private_segment_size 0
		.amdhsa_uses_dynamic_stack 0
		.amdhsa_system_sgpr_private_segment_wavefront_offset 1
		.amdhsa_system_sgpr_workgroup_id_x 1
		.amdhsa_system_sgpr_workgroup_id_y 0
		.amdhsa_system_sgpr_workgroup_id_z 0
		.amdhsa_system_sgpr_workgroup_info 0
		.amdhsa_system_vgpr_workitem_id 0
		.amdhsa_next_free_vgpr 49
		.amdhsa_next_free_sgpr 34
		.amdhsa_accum_offset 52
		.amdhsa_reserve_vcc 1
		.amdhsa_reserve_flat_scratch 1
		.amdhsa_float_round_mode_32 0
		.amdhsa_float_round_mode_16_64 0
		.amdhsa_float_denorm_mode_32 3
		.amdhsa_float_denorm_mode_16_64 3
		.amdhsa_dx10_clamp 1
		.amdhsa_ieee_mode 1
		.amdhsa_fp16_overflow 0
		.amdhsa_tg_split 0
		.amdhsa_exception_fp_ieee_invalid_op 0
		.amdhsa_exception_fp_denorm_src 0
		.amdhsa_exception_fp_ieee_div_zero 0
		.amdhsa_exception_fp_ieee_overflow 0
		.amdhsa_exception_fp_ieee_underflow 0
		.amdhsa_exception_fp_ieee_inexact 0
		.amdhsa_exception_int_div_zero 0
	.end_amdhsa_kernel
	.section	.text._Z17wvSplitKQ_hf_sml_I6__halfN3c1013Float8_e4m3fnELi64ELi4ELi16ELi16ELi1ELi4EEviiiPKT0_S5_PT_PKfS9_ii,"axG",@progbits,_Z17wvSplitKQ_hf_sml_I6__halfN3c1013Float8_e4m3fnELi64ELi4ELi16ELi16ELi1ELi4EEviiiPKT0_S5_PT_PKfS9_ii,comdat
.Lfunc_end40:
	.size	_Z17wvSplitKQ_hf_sml_I6__halfN3c1013Float8_e4m3fnELi64ELi4ELi16ELi16ELi1ELi4EEviiiPKT0_S5_PT_PKfS9_ii, .Lfunc_end40-_Z17wvSplitKQ_hf_sml_I6__halfN3c1013Float8_e4m3fnELi64ELi4ELi16ELi16ELi1ELi4EEviiiPKT0_S5_PT_PKfS9_ii
                                        ; -- End function
	.section	.AMDGPU.csdata,"",@progbits
; Kernel info:
; codeLenInByte = 88
; NumSgprs: 40
; NumVgprs: 49
; NumAgprs: 0
; TotalNumVgprs: 49
; ScratchSize: 64
; MemoryBound: 0
; FloatMode: 240
; IeeeMode: 1
; LDSByteSize: 0 bytes/workgroup (compile time only)
; SGPRBlocks: 4
; VGPRBlocks: 6
; NumSGPRsForWavesPerEU: 40
; NumVGPRsForWavesPerEU: 49
; AccumOffset: 52
; Occupancy: 8
; WaveLimiterHint : 1
; COMPUTE_PGM_RSRC2:SCRATCH_EN: 1
; COMPUTE_PGM_RSRC2:USER_SGPR: 8
; COMPUTE_PGM_RSRC2:TRAP_HANDLER: 0
; COMPUTE_PGM_RSRC2:TGID_X_EN: 1
; COMPUTE_PGM_RSRC2:TGID_Y_EN: 0
; COMPUTE_PGM_RSRC2:TGID_Z_EN: 0
; COMPUTE_PGM_RSRC2:TIDIG_COMP_CNT: 0
; COMPUTE_PGM_RSRC3_GFX90A:ACCUM_OFFSET: 12
; COMPUTE_PGM_RSRC3_GFX90A:TG_SPLIT: 0
	.section	.text._Z13wvSplitKQ_hf_I6__halfN3c1013Float8_e4m3fnELi64ELi7ELi16ELi16ELi1ELi4EEviiiPKT0_S5_PT_PKfS9_ii,"axG",@progbits,_Z13wvSplitKQ_hf_I6__halfN3c1013Float8_e4m3fnELi64ELi7ELi16ELi16ELi1ELi4EEviiiPKT0_S5_PT_PKfS9_ii,comdat
	.protected	_Z13wvSplitKQ_hf_I6__halfN3c1013Float8_e4m3fnELi64ELi7ELi16ELi16ELi1ELi4EEviiiPKT0_S5_PT_PKfS9_ii ; -- Begin function _Z13wvSplitKQ_hf_I6__halfN3c1013Float8_e4m3fnELi64ELi7ELi16ELi16ELi1ELi4EEviiiPKT0_S5_PT_PKfS9_ii
	.globl	_Z13wvSplitKQ_hf_I6__halfN3c1013Float8_e4m3fnELi64ELi7ELi16ELi16ELi1ELi4EEviiiPKT0_S5_PT_PKfS9_ii
	.p2align	8
	.type	_Z13wvSplitKQ_hf_I6__halfN3c1013Float8_e4m3fnELi64ELi7ELi16ELi16ELi1ELi4EEviiiPKT0_S5_PT_PKfS9_ii,@function
_Z13wvSplitKQ_hf_I6__halfN3c1013Float8_e4m3fnELi64ELi7ELi16ELi16ELi1ELi4EEviiiPKT0_S5_PT_PKfS9_ii: ; @_Z13wvSplitKQ_hf_I6__halfN3c1013Float8_e4m3fnELi64ELi7ELi16ELi16ELi1ELi4EEviiiPKT0_S5_PT_PKfS9_ii
; %bb.0:
	s_add_u32 flat_scratch_lo, s6, s9
	s_addc_u32 flat_scratch_hi, s7, 0
	s_add_u32 s0, s0, s9
	s_addc_u32 s1, s1, 0
	s_add_u32 s8, s4, 64
	s_addc_u32 s9, s5, 0
	s_getpc_b64 s[4:5]
	s_add_u32 s4, s4, __PRETTY_FUNCTION__._Z13wvSplitKQ_hf_I6__halfN3c1013Float8_e4m3fnELi64ELi7ELi16ELi16ELi1ELi4EEviiiPKT0_S5_PT_PKfS9_ii@rel32@lo+4
	s_addc_u32 s5, s5, __PRETTY_FUNCTION__._Z13wvSplitKQ_hf_I6__halfN3c1013Float8_e4m3fnELi64ELi7ELi16ELi16ELi1ELi4EEviiiPKT0_S5_PT_PKfS9_ii@rel32@hi+12
	v_mov_b32_e32 v0, 0x66e
	v_mov_b32_e32 v1, s4
	;; [unrolled: 1-line block ×3, first 2 shown]
	s_mov_b32 s32, 0
	s_getpc_b64 s[6:7]
	s_add_u32 s6, s6, __assert_fail@rel32@lo+4
	s_addc_u32 s7, s7, __assert_fail@rel32@hi+12
	s_swappc_b64 s[30:31], s[6:7]
	.section	.rodata,"a",@progbits
	.p2align	6, 0x0
	.amdhsa_kernel _Z13wvSplitKQ_hf_I6__halfN3c1013Float8_e4m3fnELi64ELi7ELi16ELi16ELi1ELi4EEviiiPKT0_S5_PT_PKfS9_ii
		.amdhsa_group_segment_fixed_size 0
		.amdhsa_private_segment_fixed_size 64
		.amdhsa_kernarg_size 320
		.amdhsa_user_sgpr_count 8
		.amdhsa_user_sgpr_private_segment_buffer 1
		.amdhsa_user_sgpr_dispatch_ptr 0
		.amdhsa_user_sgpr_queue_ptr 0
		.amdhsa_user_sgpr_kernarg_segment_ptr 1
		.amdhsa_user_sgpr_dispatch_id 0
		.amdhsa_user_sgpr_flat_scratch_init 1
		.amdhsa_user_sgpr_kernarg_preload_length 0
		.amdhsa_user_sgpr_kernarg_preload_offset 0
		.amdhsa_user_sgpr_private_segment_size 0
		.amdhsa_uses_dynamic_stack 0
		.amdhsa_system_sgpr_private_segment_wavefront_offset 1
		.amdhsa_system_sgpr_workgroup_id_x 1
		.amdhsa_system_sgpr_workgroup_id_y 0
		.amdhsa_system_sgpr_workgroup_id_z 0
		.amdhsa_system_sgpr_workgroup_info 0
		.amdhsa_system_vgpr_workitem_id 0
		.amdhsa_next_free_vgpr 49
		.amdhsa_next_free_sgpr 34
		.amdhsa_accum_offset 52
		.amdhsa_reserve_vcc 1
		.amdhsa_reserve_flat_scratch 1
		.amdhsa_float_round_mode_32 0
		.amdhsa_float_round_mode_16_64 0
		.amdhsa_float_denorm_mode_32 3
		.amdhsa_float_denorm_mode_16_64 3
		.amdhsa_dx10_clamp 1
		.amdhsa_ieee_mode 1
		.amdhsa_fp16_overflow 0
		.amdhsa_tg_split 0
		.amdhsa_exception_fp_ieee_invalid_op 0
		.amdhsa_exception_fp_denorm_src 0
		.amdhsa_exception_fp_ieee_div_zero 0
		.amdhsa_exception_fp_ieee_overflow 0
		.amdhsa_exception_fp_ieee_underflow 0
		.amdhsa_exception_fp_ieee_inexact 0
		.amdhsa_exception_int_div_zero 0
	.end_amdhsa_kernel
	.section	.text._Z13wvSplitKQ_hf_I6__halfN3c1013Float8_e4m3fnELi64ELi7ELi16ELi16ELi1ELi4EEviiiPKT0_S5_PT_PKfS9_ii,"axG",@progbits,_Z13wvSplitKQ_hf_I6__halfN3c1013Float8_e4m3fnELi64ELi7ELi16ELi16ELi1ELi4EEviiiPKT0_S5_PT_PKfS9_ii,comdat
.Lfunc_end41:
	.size	_Z13wvSplitKQ_hf_I6__halfN3c1013Float8_e4m3fnELi64ELi7ELi16ELi16ELi1ELi4EEviiiPKT0_S5_PT_PKfS9_ii, .Lfunc_end41-_Z13wvSplitKQ_hf_I6__halfN3c1013Float8_e4m3fnELi64ELi7ELi16ELi16ELi1ELi4EEviiiPKT0_S5_PT_PKfS9_ii
                                        ; -- End function
	.section	.AMDGPU.csdata,"",@progbits
; Kernel info:
; codeLenInByte = 88
; NumSgprs: 40
; NumVgprs: 49
; NumAgprs: 0
; TotalNumVgprs: 49
; ScratchSize: 64
; MemoryBound: 0
; FloatMode: 240
; IeeeMode: 1
; LDSByteSize: 0 bytes/workgroup (compile time only)
; SGPRBlocks: 4
; VGPRBlocks: 6
; NumSGPRsForWavesPerEU: 40
; NumVGPRsForWavesPerEU: 49
; AccumOffset: 52
; Occupancy: 8
; WaveLimiterHint : 1
; COMPUTE_PGM_RSRC2:SCRATCH_EN: 1
; COMPUTE_PGM_RSRC2:USER_SGPR: 8
; COMPUTE_PGM_RSRC2:TRAP_HANDLER: 0
; COMPUTE_PGM_RSRC2:TGID_X_EN: 1
; COMPUTE_PGM_RSRC2:TGID_Y_EN: 0
; COMPUTE_PGM_RSRC2:TGID_Z_EN: 0
; COMPUTE_PGM_RSRC2:TIDIG_COMP_CNT: 0
; COMPUTE_PGM_RSRC3_GFX90A:ACCUM_OFFSET: 12
; COMPUTE_PGM_RSRC3_GFX90A:TG_SPLIT: 0
	.section	.text._Z17wvSplitKQ_hf_sml_I6__halfN3c1015Float8_e4m3fnuzELi64ELi2ELi16ELi16ELi2ELi1EEviiiPKT0_S5_PT_PKfS9_ii,"axG",@progbits,_Z17wvSplitKQ_hf_sml_I6__halfN3c1015Float8_e4m3fnuzELi64ELi2ELi16ELi16ELi2ELi1EEviiiPKT0_S5_PT_PKfS9_ii,comdat
	.protected	_Z17wvSplitKQ_hf_sml_I6__halfN3c1015Float8_e4m3fnuzELi64ELi2ELi16ELi16ELi2ELi1EEviiiPKT0_S5_PT_PKfS9_ii ; -- Begin function _Z17wvSplitKQ_hf_sml_I6__halfN3c1015Float8_e4m3fnuzELi64ELi2ELi16ELi16ELi2ELi1EEviiiPKT0_S5_PT_PKfS9_ii
	.globl	_Z17wvSplitKQ_hf_sml_I6__halfN3c1015Float8_e4m3fnuzELi64ELi2ELi16ELi16ELi2ELi1EEviiiPKT0_S5_PT_PKfS9_ii
	.p2align	8
	.type	_Z17wvSplitKQ_hf_sml_I6__halfN3c1015Float8_e4m3fnuzELi64ELi2ELi16ELi16ELi2ELi1EEviiiPKT0_S5_PT_PKfS9_ii,@function
_Z17wvSplitKQ_hf_sml_I6__halfN3c1015Float8_e4m3fnuzELi64ELi2ELi16ELi16ELi2ELi1EEviiiPKT0_S5_PT_PKfS9_ii: ; @_Z17wvSplitKQ_hf_sml_I6__halfN3c1015Float8_e4m3fnuzELi64ELi2ELi16ELi16ELi2ELi1EEviiiPKT0_S5_PT_PKfS9_ii
; %bb.0:
	s_add_u32 flat_scratch_lo, s6, s9
	s_addc_u32 flat_scratch_hi, s7, 0
	s_add_u32 s0, s0, s9
	s_addc_u32 s1, s1, 0
	s_add_u32 s8, s4, 64
	s_addc_u32 s9, s5, 0
	s_getpc_b64 s[4:5]
	s_add_u32 s4, s4, __PRETTY_FUNCTION__._Z17wvSplitKQ_hf_sml_I6__halfN3c1015Float8_e4m3fnuzELi64ELi2ELi16ELi16ELi2ELi1EEviiiPKT0_S5_PT_PKfS9_ii@rel32@lo+4
	s_addc_u32 s5, s5, __PRETTY_FUNCTION__._Z17wvSplitKQ_hf_sml_I6__halfN3c1015Float8_e4m3fnuzELi64ELi2ELi16ELi16ELi2ELi1EEviiiPKT0_S5_PT_PKfS9_ii@rel32@hi+12
	v_mov_b32_e32 v0, 0x5c1
	v_mov_b32_e32 v1, s4
	;; [unrolled: 1-line block ×3, first 2 shown]
	s_mov_b32 s32, 0
	s_getpc_b64 s[6:7]
	s_add_u32 s6, s6, __assert_fail@rel32@lo+4
	s_addc_u32 s7, s7, __assert_fail@rel32@hi+12
	s_swappc_b64 s[30:31], s[6:7]
	.section	.rodata,"a",@progbits
	.p2align	6, 0x0
	.amdhsa_kernel _Z17wvSplitKQ_hf_sml_I6__halfN3c1015Float8_e4m3fnuzELi64ELi2ELi16ELi16ELi2ELi1EEviiiPKT0_S5_PT_PKfS9_ii
		.amdhsa_group_segment_fixed_size 0
		.amdhsa_private_segment_fixed_size 64
		.amdhsa_kernarg_size 320
		.amdhsa_user_sgpr_count 8
		.amdhsa_user_sgpr_private_segment_buffer 1
		.amdhsa_user_sgpr_dispatch_ptr 0
		.amdhsa_user_sgpr_queue_ptr 0
		.amdhsa_user_sgpr_kernarg_segment_ptr 1
		.amdhsa_user_sgpr_dispatch_id 0
		.amdhsa_user_sgpr_flat_scratch_init 1
		.amdhsa_user_sgpr_kernarg_preload_length 0
		.amdhsa_user_sgpr_kernarg_preload_offset 0
		.amdhsa_user_sgpr_private_segment_size 0
		.amdhsa_uses_dynamic_stack 0
		.amdhsa_system_sgpr_private_segment_wavefront_offset 1
		.amdhsa_system_sgpr_workgroup_id_x 1
		.amdhsa_system_sgpr_workgroup_id_y 0
		.amdhsa_system_sgpr_workgroup_id_z 0
		.amdhsa_system_sgpr_workgroup_info 0
		.amdhsa_system_vgpr_workitem_id 0
		.amdhsa_next_free_vgpr 49
		.amdhsa_next_free_sgpr 34
		.amdhsa_accum_offset 52
		.amdhsa_reserve_vcc 1
		.amdhsa_reserve_flat_scratch 1
		.amdhsa_float_round_mode_32 0
		.amdhsa_float_round_mode_16_64 0
		.amdhsa_float_denorm_mode_32 3
		.amdhsa_float_denorm_mode_16_64 3
		.amdhsa_dx10_clamp 1
		.amdhsa_ieee_mode 1
		.amdhsa_fp16_overflow 0
		.amdhsa_tg_split 0
		.amdhsa_exception_fp_ieee_invalid_op 0
		.amdhsa_exception_fp_denorm_src 0
		.amdhsa_exception_fp_ieee_div_zero 0
		.amdhsa_exception_fp_ieee_overflow 0
		.amdhsa_exception_fp_ieee_underflow 0
		.amdhsa_exception_fp_ieee_inexact 0
		.amdhsa_exception_int_div_zero 0
	.end_amdhsa_kernel
	.section	.text._Z17wvSplitKQ_hf_sml_I6__halfN3c1015Float8_e4m3fnuzELi64ELi2ELi16ELi16ELi2ELi1EEviiiPKT0_S5_PT_PKfS9_ii,"axG",@progbits,_Z17wvSplitKQ_hf_sml_I6__halfN3c1015Float8_e4m3fnuzELi64ELi2ELi16ELi16ELi2ELi1EEviiiPKT0_S5_PT_PKfS9_ii,comdat
.Lfunc_end42:
	.size	_Z17wvSplitKQ_hf_sml_I6__halfN3c1015Float8_e4m3fnuzELi64ELi2ELi16ELi16ELi2ELi1EEviiiPKT0_S5_PT_PKfS9_ii, .Lfunc_end42-_Z17wvSplitKQ_hf_sml_I6__halfN3c1015Float8_e4m3fnuzELi64ELi2ELi16ELi16ELi2ELi1EEviiiPKT0_S5_PT_PKfS9_ii
                                        ; -- End function
	.section	.AMDGPU.csdata,"",@progbits
; Kernel info:
; codeLenInByte = 88
; NumSgprs: 40
; NumVgprs: 49
; NumAgprs: 0
; TotalNumVgprs: 49
; ScratchSize: 64
; MemoryBound: 0
; FloatMode: 240
; IeeeMode: 1
; LDSByteSize: 0 bytes/workgroup (compile time only)
; SGPRBlocks: 4
; VGPRBlocks: 6
; NumSGPRsForWavesPerEU: 40
; NumVGPRsForWavesPerEU: 49
; AccumOffset: 52
; Occupancy: 8
; WaveLimiterHint : 1
; COMPUTE_PGM_RSRC2:SCRATCH_EN: 1
; COMPUTE_PGM_RSRC2:USER_SGPR: 8
; COMPUTE_PGM_RSRC2:TRAP_HANDLER: 0
; COMPUTE_PGM_RSRC2:TGID_X_EN: 1
; COMPUTE_PGM_RSRC2:TGID_Y_EN: 0
; COMPUTE_PGM_RSRC2:TGID_Z_EN: 0
; COMPUTE_PGM_RSRC2:TIDIG_COMP_CNT: 0
; COMPUTE_PGM_RSRC3_GFX90A:ACCUM_OFFSET: 12
; COMPUTE_PGM_RSRC3_GFX90A:TG_SPLIT: 0
	.section	.text._Z13wvSplitKQ_hf_I6__halfN3c1015Float8_e4m3fnuzELi64ELi2ELi16ELi16ELi2ELi1EEviiiPKT0_S5_PT_PKfS9_ii,"axG",@progbits,_Z13wvSplitKQ_hf_I6__halfN3c1015Float8_e4m3fnuzELi64ELi2ELi16ELi16ELi2ELi1EEviiiPKT0_S5_PT_PKfS9_ii,comdat
	.protected	_Z13wvSplitKQ_hf_I6__halfN3c1015Float8_e4m3fnuzELi64ELi2ELi16ELi16ELi2ELi1EEviiiPKT0_S5_PT_PKfS9_ii ; -- Begin function _Z13wvSplitKQ_hf_I6__halfN3c1015Float8_e4m3fnuzELi64ELi2ELi16ELi16ELi2ELi1EEviiiPKT0_S5_PT_PKfS9_ii
	.globl	_Z13wvSplitKQ_hf_I6__halfN3c1015Float8_e4m3fnuzELi64ELi2ELi16ELi16ELi2ELi1EEviiiPKT0_S5_PT_PKfS9_ii
	.p2align	8
	.type	_Z13wvSplitKQ_hf_I6__halfN3c1015Float8_e4m3fnuzELi64ELi2ELi16ELi16ELi2ELi1EEviiiPKT0_S5_PT_PKfS9_ii,@function
_Z13wvSplitKQ_hf_I6__halfN3c1015Float8_e4m3fnuzELi64ELi2ELi16ELi16ELi2ELi1EEviiiPKT0_S5_PT_PKfS9_ii: ; @_Z13wvSplitKQ_hf_I6__halfN3c1015Float8_e4m3fnuzELi64ELi2ELi16ELi16ELi2ELi1EEviiiPKT0_S5_PT_PKfS9_ii
; %bb.0:
	s_add_u32 flat_scratch_lo, s6, s9
	s_addc_u32 flat_scratch_hi, s7, 0
	s_add_u32 s0, s0, s9
	s_addc_u32 s1, s1, 0
	s_add_u32 s8, s4, 64
	s_addc_u32 s9, s5, 0
	s_getpc_b64 s[4:5]
	s_add_u32 s4, s4, __PRETTY_FUNCTION__._Z13wvSplitKQ_hf_I6__halfN3c1015Float8_e4m3fnuzELi64ELi2ELi16ELi16ELi2ELi1EEviiiPKT0_S5_PT_PKfS9_ii@rel32@lo+4
	s_addc_u32 s5, s5, __PRETTY_FUNCTION__._Z13wvSplitKQ_hf_I6__halfN3c1015Float8_e4m3fnuzELi64ELi2ELi16ELi16ELi2ELi1EEviiiPKT0_S5_PT_PKfS9_ii@rel32@hi+12
	v_mov_b32_e32 v0, 0x66e
	v_mov_b32_e32 v1, s4
	;; [unrolled: 1-line block ×3, first 2 shown]
	s_mov_b32 s32, 0
	s_getpc_b64 s[6:7]
	s_add_u32 s6, s6, __assert_fail@rel32@lo+4
	s_addc_u32 s7, s7, __assert_fail@rel32@hi+12
	s_swappc_b64 s[30:31], s[6:7]
	.section	.rodata,"a",@progbits
	.p2align	6, 0x0
	.amdhsa_kernel _Z13wvSplitKQ_hf_I6__halfN3c1015Float8_e4m3fnuzELi64ELi2ELi16ELi16ELi2ELi1EEviiiPKT0_S5_PT_PKfS9_ii
		.amdhsa_group_segment_fixed_size 0
		.amdhsa_private_segment_fixed_size 64
		.amdhsa_kernarg_size 320
		.amdhsa_user_sgpr_count 8
		.amdhsa_user_sgpr_private_segment_buffer 1
		.amdhsa_user_sgpr_dispatch_ptr 0
		.amdhsa_user_sgpr_queue_ptr 0
		.amdhsa_user_sgpr_kernarg_segment_ptr 1
		.amdhsa_user_sgpr_dispatch_id 0
		.amdhsa_user_sgpr_flat_scratch_init 1
		.amdhsa_user_sgpr_kernarg_preload_length 0
		.amdhsa_user_sgpr_kernarg_preload_offset 0
		.amdhsa_user_sgpr_private_segment_size 0
		.amdhsa_uses_dynamic_stack 0
		.amdhsa_system_sgpr_private_segment_wavefront_offset 1
		.amdhsa_system_sgpr_workgroup_id_x 1
		.amdhsa_system_sgpr_workgroup_id_y 0
		.amdhsa_system_sgpr_workgroup_id_z 0
		.amdhsa_system_sgpr_workgroup_info 0
		.amdhsa_system_vgpr_workitem_id 0
		.amdhsa_next_free_vgpr 49
		.amdhsa_next_free_sgpr 34
		.amdhsa_accum_offset 52
		.amdhsa_reserve_vcc 1
		.amdhsa_reserve_flat_scratch 1
		.amdhsa_float_round_mode_32 0
		.amdhsa_float_round_mode_16_64 0
		.amdhsa_float_denorm_mode_32 3
		.amdhsa_float_denorm_mode_16_64 3
		.amdhsa_dx10_clamp 1
		.amdhsa_ieee_mode 1
		.amdhsa_fp16_overflow 0
		.amdhsa_tg_split 0
		.amdhsa_exception_fp_ieee_invalid_op 0
		.amdhsa_exception_fp_denorm_src 0
		.amdhsa_exception_fp_ieee_div_zero 0
		.amdhsa_exception_fp_ieee_overflow 0
		.amdhsa_exception_fp_ieee_underflow 0
		.amdhsa_exception_fp_ieee_inexact 0
		.amdhsa_exception_int_div_zero 0
	.end_amdhsa_kernel
	.section	.text._Z13wvSplitKQ_hf_I6__halfN3c1015Float8_e4m3fnuzELi64ELi2ELi16ELi16ELi2ELi1EEviiiPKT0_S5_PT_PKfS9_ii,"axG",@progbits,_Z13wvSplitKQ_hf_I6__halfN3c1015Float8_e4m3fnuzELi64ELi2ELi16ELi16ELi2ELi1EEviiiPKT0_S5_PT_PKfS9_ii,comdat
.Lfunc_end43:
	.size	_Z13wvSplitKQ_hf_I6__halfN3c1015Float8_e4m3fnuzELi64ELi2ELi16ELi16ELi2ELi1EEviiiPKT0_S5_PT_PKfS9_ii, .Lfunc_end43-_Z13wvSplitKQ_hf_I6__halfN3c1015Float8_e4m3fnuzELi64ELi2ELi16ELi16ELi2ELi1EEviiiPKT0_S5_PT_PKfS9_ii
                                        ; -- End function
	.section	.AMDGPU.csdata,"",@progbits
; Kernel info:
; codeLenInByte = 88
; NumSgprs: 40
; NumVgprs: 49
; NumAgprs: 0
; TotalNumVgprs: 49
; ScratchSize: 64
; MemoryBound: 0
; FloatMode: 240
; IeeeMode: 1
; LDSByteSize: 0 bytes/workgroup (compile time only)
; SGPRBlocks: 4
; VGPRBlocks: 6
; NumSGPRsForWavesPerEU: 40
; NumVGPRsForWavesPerEU: 49
; AccumOffset: 52
; Occupancy: 8
; WaveLimiterHint : 1
; COMPUTE_PGM_RSRC2:SCRATCH_EN: 1
; COMPUTE_PGM_RSRC2:USER_SGPR: 8
; COMPUTE_PGM_RSRC2:TRAP_HANDLER: 0
; COMPUTE_PGM_RSRC2:TGID_X_EN: 1
; COMPUTE_PGM_RSRC2:TGID_Y_EN: 0
; COMPUTE_PGM_RSRC2:TGID_Z_EN: 0
; COMPUTE_PGM_RSRC2:TIDIG_COMP_CNT: 0
; COMPUTE_PGM_RSRC3_GFX90A:ACCUM_OFFSET: 12
; COMPUTE_PGM_RSRC3_GFX90A:TG_SPLIT: 0
	.section	.text._Z17wvSplitKQ_hf_sml_I6__halfN3c1015Float8_e4m3fnuzELi64ELi2ELi16ELi16ELi2ELi2EEviiiPKT0_S5_PT_PKfS9_ii,"axG",@progbits,_Z17wvSplitKQ_hf_sml_I6__halfN3c1015Float8_e4m3fnuzELi64ELi2ELi16ELi16ELi2ELi2EEviiiPKT0_S5_PT_PKfS9_ii,comdat
	.protected	_Z17wvSplitKQ_hf_sml_I6__halfN3c1015Float8_e4m3fnuzELi64ELi2ELi16ELi16ELi2ELi2EEviiiPKT0_S5_PT_PKfS9_ii ; -- Begin function _Z17wvSplitKQ_hf_sml_I6__halfN3c1015Float8_e4m3fnuzELi64ELi2ELi16ELi16ELi2ELi2EEviiiPKT0_S5_PT_PKfS9_ii
	.globl	_Z17wvSplitKQ_hf_sml_I6__halfN3c1015Float8_e4m3fnuzELi64ELi2ELi16ELi16ELi2ELi2EEviiiPKT0_S5_PT_PKfS9_ii
	.p2align	8
	.type	_Z17wvSplitKQ_hf_sml_I6__halfN3c1015Float8_e4m3fnuzELi64ELi2ELi16ELi16ELi2ELi2EEviiiPKT0_S5_PT_PKfS9_ii,@function
_Z17wvSplitKQ_hf_sml_I6__halfN3c1015Float8_e4m3fnuzELi64ELi2ELi16ELi16ELi2ELi2EEviiiPKT0_S5_PT_PKfS9_ii: ; @_Z17wvSplitKQ_hf_sml_I6__halfN3c1015Float8_e4m3fnuzELi64ELi2ELi16ELi16ELi2ELi2EEviiiPKT0_S5_PT_PKfS9_ii
; %bb.0:
	s_add_u32 flat_scratch_lo, s6, s9
	s_addc_u32 flat_scratch_hi, s7, 0
	s_add_u32 s0, s0, s9
	s_addc_u32 s1, s1, 0
	s_add_u32 s8, s4, 64
	s_addc_u32 s9, s5, 0
	s_getpc_b64 s[4:5]
	s_add_u32 s4, s4, __PRETTY_FUNCTION__._Z17wvSplitKQ_hf_sml_I6__halfN3c1015Float8_e4m3fnuzELi64ELi2ELi16ELi16ELi2ELi2EEviiiPKT0_S5_PT_PKfS9_ii@rel32@lo+4
	s_addc_u32 s5, s5, __PRETTY_FUNCTION__._Z17wvSplitKQ_hf_sml_I6__halfN3c1015Float8_e4m3fnuzELi64ELi2ELi16ELi16ELi2ELi2EEviiiPKT0_S5_PT_PKfS9_ii@rel32@hi+12
	v_mov_b32_e32 v0, 0x5c1
	v_mov_b32_e32 v1, s4
	;; [unrolled: 1-line block ×3, first 2 shown]
	s_mov_b32 s32, 0
	s_getpc_b64 s[6:7]
	s_add_u32 s6, s6, __assert_fail@rel32@lo+4
	s_addc_u32 s7, s7, __assert_fail@rel32@hi+12
	s_swappc_b64 s[30:31], s[6:7]
	.section	.rodata,"a",@progbits
	.p2align	6, 0x0
	.amdhsa_kernel _Z17wvSplitKQ_hf_sml_I6__halfN3c1015Float8_e4m3fnuzELi64ELi2ELi16ELi16ELi2ELi2EEviiiPKT0_S5_PT_PKfS9_ii
		.amdhsa_group_segment_fixed_size 0
		.amdhsa_private_segment_fixed_size 64
		.amdhsa_kernarg_size 320
		.amdhsa_user_sgpr_count 8
		.amdhsa_user_sgpr_private_segment_buffer 1
		.amdhsa_user_sgpr_dispatch_ptr 0
		.amdhsa_user_sgpr_queue_ptr 0
		.amdhsa_user_sgpr_kernarg_segment_ptr 1
		.amdhsa_user_sgpr_dispatch_id 0
		.amdhsa_user_sgpr_flat_scratch_init 1
		.amdhsa_user_sgpr_kernarg_preload_length 0
		.amdhsa_user_sgpr_kernarg_preload_offset 0
		.amdhsa_user_sgpr_private_segment_size 0
		.amdhsa_uses_dynamic_stack 0
		.amdhsa_system_sgpr_private_segment_wavefront_offset 1
		.amdhsa_system_sgpr_workgroup_id_x 1
		.amdhsa_system_sgpr_workgroup_id_y 0
		.amdhsa_system_sgpr_workgroup_id_z 0
		.amdhsa_system_sgpr_workgroup_info 0
		.amdhsa_system_vgpr_workitem_id 0
		.amdhsa_next_free_vgpr 49
		.amdhsa_next_free_sgpr 34
		.amdhsa_accum_offset 52
		.amdhsa_reserve_vcc 1
		.amdhsa_reserve_flat_scratch 1
		.amdhsa_float_round_mode_32 0
		.amdhsa_float_round_mode_16_64 0
		.amdhsa_float_denorm_mode_32 3
		.amdhsa_float_denorm_mode_16_64 3
		.amdhsa_dx10_clamp 1
		.amdhsa_ieee_mode 1
		.amdhsa_fp16_overflow 0
		.amdhsa_tg_split 0
		.amdhsa_exception_fp_ieee_invalid_op 0
		.amdhsa_exception_fp_denorm_src 0
		.amdhsa_exception_fp_ieee_div_zero 0
		.amdhsa_exception_fp_ieee_overflow 0
		.amdhsa_exception_fp_ieee_underflow 0
		.amdhsa_exception_fp_ieee_inexact 0
		.amdhsa_exception_int_div_zero 0
	.end_amdhsa_kernel
	.section	.text._Z17wvSplitKQ_hf_sml_I6__halfN3c1015Float8_e4m3fnuzELi64ELi2ELi16ELi16ELi2ELi2EEviiiPKT0_S5_PT_PKfS9_ii,"axG",@progbits,_Z17wvSplitKQ_hf_sml_I6__halfN3c1015Float8_e4m3fnuzELi64ELi2ELi16ELi16ELi2ELi2EEviiiPKT0_S5_PT_PKfS9_ii,comdat
.Lfunc_end44:
	.size	_Z17wvSplitKQ_hf_sml_I6__halfN3c1015Float8_e4m3fnuzELi64ELi2ELi16ELi16ELi2ELi2EEviiiPKT0_S5_PT_PKfS9_ii, .Lfunc_end44-_Z17wvSplitKQ_hf_sml_I6__halfN3c1015Float8_e4m3fnuzELi64ELi2ELi16ELi16ELi2ELi2EEviiiPKT0_S5_PT_PKfS9_ii
                                        ; -- End function
	.section	.AMDGPU.csdata,"",@progbits
; Kernel info:
; codeLenInByte = 88
; NumSgprs: 40
; NumVgprs: 49
; NumAgprs: 0
; TotalNumVgprs: 49
; ScratchSize: 64
; MemoryBound: 0
; FloatMode: 240
; IeeeMode: 1
; LDSByteSize: 0 bytes/workgroup (compile time only)
; SGPRBlocks: 4
; VGPRBlocks: 6
; NumSGPRsForWavesPerEU: 40
; NumVGPRsForWavesPerEU: 49
; AccumOffset: 52
; Occupancy: 8
; WaveLimiterHint : 1
; COMPUTE_PGM_RSRC2:SCRATCH_EN: 1
; COMPUTE_PGM_RSRC2:USER_SGPR: 8
; COMPUTE_PGM_RSRC2:TRAP_HANDLER: 0
; COMPUTE_PGM_RSRC2:TGID_X_EN: 1
; COMPUTE_PGM_RSRC2:TGID_Y_EN: 0
; COMPUTE_PGM_RSRC2:TGID_Z_EN: 0
; COMPUTE_PGM_RSRC2:TIDIG_COMP_CNT: 0
; COMPUTE_PGM_RSRC3_GFX90A:ACCUM_OFFSET: 12
; COMPUTE_PGM_RSRC3_GFX90A:TG_SPLIT: 0
	.section	.text._Z13wvSplitKQ_hf_I6__halfN3c1015Float8_e4m3fnuzELi64ELi2ELi16ELi16ELi2ELi2EEviiiPKT0_S5_PT_PKfS9_ii,"axG",@progbits,_Z13wvSplitKQ_hf_I6__halfN3c1015Float8_e4m3fnuzELi64ELi2ELi16ELi16ELi2ELi2EEviiiPKT0_S5_PT_PKfS9_ii,comdat
	.protected	_Z13wvSplitKQ_hf_I6__halfN3c1015Float8_e4m3fnuzELi64ELi2ELi16ELi16ELi2ELi2EEviiiPKT0_S5_PT_PKfS9_ii ; -- Begin function _Z13wvSplitKQ_hf_I6__halfN3c1015Float8_e4m3fnuzELi64ELi2ELi16ELi16ELi2ELi2EEviiiPKT0_S5_PT_PKfS9_ii
	.globl	_Z13wvSplitKQ_hf_I6__halfN3c1015Float8_e4m3fnuzELi64ELi2ELi16ELi16ELi2ELi2EEviiiPKT0_S5_PT_PKfS9_ii
	.p2align	8
	.type	_Z13wvSplitKQ_hf_I6__halfN3c1015Float8_e4m3fnuzELi64ELi2ELi16ELi16ELi2ELi2EEviiiPKT0_S5_PT_PKfS9_ii,@function
_Z13wvSplitKQ_hf_I6__halfN3c1015Float8_e4m3fnuzELi64ELi2ELi16ELi16ELi2ELi2EEviiiPKT0_S5_PT_PKfS9_ii: ; @_Z13wvSplitKQ_hf_I6__halfN3c1015Float8_e4m3fnuzELi64ELi2ELi16ELi16ELi2ELi2EEviiiPKT0_S5_PT_PKfS9_ii
; %bb.0:
	s_add_u32 flat_scratch_lo, s6, s9
	s_addc_u32 flat_scratch_hi, s7, 0
	s_add_u32 s0, s0, s9
	s_addc_u32 s1, s1, 0
	s_add_u32 s8, s4, 64
	s_addc_u32 s9, s5, 0
	s_getpc_b64 s[4:5]
	s_add_u32 s4, s4, __PRETTY_FUNCTION__._Z13wvSplitKQ_hf_I6__halfN3c1015Float8_e4m3fnuzELi64ELi2ELi16ELi16ELi2ELi2EEviiiPKT0_S5_PT_PKfS9_ii@rel32@lo+4
	s_addc_u32 s5, s5, __PRETTY_FUNCTION__._Z13wvSplitKQ_hf_I6__halfN3c1015Float8_e4m3fnuzELi64ELi2ELi16ELi16ELi2ELi2EEviiiPKT0_S5_PT_PKfS9_ii@rel32@hi+12
	v_mov_b32_e32 v0, 0x66e
	v_mov_b32_e32 v1, s4
	v_mov_b32_e32 v2, s5
	s_mov_b32 s32, 0
	s_getpc_b64 s[6:7]
	s_add_u32 s6, s6, __assert_fail@rel32@lo+4
	s_addc_u32 s7, s7, __assert_fail@rel32@hi+12
	s_swappc_b64 s[30:31], s[6:7]
	.section	.rodata,"a",@progbits
	.p2align	6, 0x0
	.amdhsa_kernel _Z13wvSplitKQ_hf_I6__halfN3c1015Float8_e4m3fnuzELi64ELi2ELi16ELi16ELi2ELi2EEviiiPKT0_S5_PT_PKfS9_ii
		.amdhsa_group_segment_fixed_size 0
		.amdhsa_private_segment_fixed_size 64
		.amdhsa_kernarg_size 320
		.amdhsa_user_sgpr_count 8
		.amdhsa_user_sgpr_private_segment_buffer 1
		.amdhsa_user_sgpr_dispatch_ptr 0
		.amdhsa_user_sgpr_queue_ptr 0
		.amdhsa_user_sgpr_kernarg_segment_ptr 1
		.amdhsa_user_sgpr_dispatch_id 0
		.amdhsa_user_sgpr_flat_scratch_init 1
		.amdhsa_user_sgpr_kernarg_preload_length 0
		.amdhsa_user_sgpr_kernarg_preload_offset 0
		.amdhsa_user_sgpr_private_segment_size 0
		.amdhsa_uses_dynamic_stack 0
		.amdhsa_system_sgpr_private_segment_wavefront_offset 1
		.amdhsa_system_sgpr_workgroup_id_x 1
		.amdhsa_system_sgpr_workgroup_id_y 0
		.amdhsa_system_sgpr_workgroup_id_z 0
		.amdhsa_system_sgpr_workgroup_info 0
		.amdhsa_system_vgpr_workitem_id 0
		.amdhsa_next_free_vgpr 49
		.amdhsa_next_free_sgpr 34
		.amdhsa_accum_offset 52
		.amdhsa_reserve_vcc 1
		.amdhsa_reserve_flat_scratch 1
		.amdhsa_float_round_mode_32 0
		.amdhsa_float_round_mode_16_64 0
		.amdhsa_float_denorm_mode_32 3
		.amdhsa_float_denorm_mode_16_64 3
		.amdhsa_dx10_clamp 1
		.amdhsa_ieee_mode 1
		.amdhsa_fp16_overflow 0
		.amdhsa_tg_split 0
		.amdhsa_exception_fp_ieee_invalid_op 0
		.amdhsa_exception_fp_denorm_src 0
		.amdhsa_exception_fp_ieee_div_zero 0
		.amdhsa_exception_fp_ieee_overflow 0
		.amdhsa_exception_fp_ieee_underflow 0
		.amdhsa_exception_fp_ieee_inexact 0
		.amdhsa_exception_int_div_zero 0
	.end_amdhsa_kernel
	.section	.text._Z13wvSplitKQ_hf_I6__halfN3c1015Float8_e4m3fnuzELi64ELi2ELi16ELi16ELi2ELi2EEviiiPKT0_S5_PT_PKfS9_ii,"axG",@progbits,_Z13wvSplitKQ_hf_I6__halfN3c1015Float8_e4m3fnuzELi64ELi2ELi16ELi16ELi2ELi2EEviiiPKT0_S5_PT_PKfS9_ii,comdat
.Lfunc_end45:
	.size	_Z13wvSplitKQ_hf_I6__halfN3c1015Float8_e4m3fnuzELi64ELi2ELi16ELi16ELi2ELi2EEviiiPKT0_S5_PT_PKfS9_ii, .Lfunc_end45-_Z13wvSplitKQ_hf_I6__halfN3c1015Float8_e4m3fnuzELi64ELi2ELi16ELi16ELi2ELi2EEviiiPKT0_S5_PT_PKfS9_ii
                                        ; -- End function
	.section	.AMDGPU.csdata,"",@progbits
; Kernel info:
; codeLenInByte = 88
; NumSgprs: 40
; NumVgprs: 49
; NumAgprs: 0
; TotalNumVgprs: 49
; ScratchSize: 64
; MemoryBound: 0
; FloatMode: 240
; IeeeMode: 1
; LDSByteSize: 0 bytes/workgroup (compile time only)
; SGPRBlocks: 4
; VGPRBlocks: 6
; NumSGPRsForWavesPerEU: 40
; NumVGPRsForWavesPerEU: 49
; AccumOffset: 52
; Occupancy: 8
; WaveLimiterHint : 1
; COMPUTE_PGM_RSRC2:SCRATCH_EN: 1
; COMPUTE_PGM_RSRC2:USER_SGPR: 8
; COMPUTE_PGM_RSRC2:TRAP_HANDLER: 0
; COMPUTE_PGM_RSRC2:TGID_X_EN: 1
; COMPUTE_PGM_RSRC2:TGID_Y_EN: 0
; COMPUTE_PGM_RSRC2:TGID_Z_EN: 0
; COMPUTE_PGM_RSRC2:TIDIG_COMP_CNT: 0
; COMPUTE_PGM_RSRC3_GFX90A:ACCUM_OFFSET: 12
; COMPUTE_PGM_RSRC3_GFX90A:TG_SPLIT: 0
	.section	.text._Z17wvSplitKQ_hf_sml_I6__halfN3c1015Float8_e4m3fnuzELi64ELi4ELi16ELi16ELi1ELi3EEviiiPKT0_S5_PT_PKfS9_ii,"axG",@progbits,_Z17wvSplitKQ_hf_sml_I6__halfN3c1015Float8_e4m3fnuzELi64ELi4ELi16ELi16ELi1ELi3EEviiiPKT0_S5_PT_PKfS9_ii,comdat
	.protected	_Z17wvSplitKQ_hf_sml_I6__halfN3c1015Float8_e4m3fnuzELi64ELi4ELi16ELi16ELi1ELi3EEviiiPKT0_S5_PT_PKfS9_ii ; -- Begin function _Z17wvSplitKQ_hf_sml_I6__halfN3c1015Float8_e4m3fnuzELi64ELi4ELi16ELi16ELi1ELi3EEviiiPKT0_S5_PT_PKfS9_ii
	.globl	_Z17wvSplitKQ_hf_sml_I6__halfN3c1015Float8_e4m3fnuzELi64ELi4ELi16ELi16ELi1ELi3EEviiiPKT0_S5_PT_PKfS9_ii
	.p2align	8
	.type	_Z17wvSplitKQ_hf_sml_I6__halfN3c1015Float8_e4m3fnuzELi64ELi4ELi16ELi16ELi1ELi3EEviiiPKT0_S5_PT_PKfS9_ii,@function
_Z17wvSplitKQ_hf_sml_I6__halfN3c1015Float8_e4m3fnuzELi64ELi4ELi16ELi16ELi1ELi3EEviiiPKT0_S5_PT_PKfS9_ii: ; @_Z17wvSplitKQ_hf_sml_I6__halfN3c1015Float8_e4m3fnuzELi64ELi4ELi16ELi16ELi1ELi3EEviiiPKT0_S5_PT_PKfS9_ii
; %bb.0:
	s_add_u32 flat_scratch_lo, s6, s9
	s_addc_u32 flat_scratch_hi, s7, 0
	s_add_u32 s0, s0, s9
	s_addc_u32 s1, s1, 0
	s_add_u32 s8, s4, 64
	s_addc_u32 s9, s5, 0
	s_getpc_b64 s[4:5]
	s_add_u32 s4, s4, __PRETTY_FUNCTION__._Z17wvSplitKQ_hf_sml_I6__halfN3c1015Float8_e4m3fnuzELi64ELi4ELi16ELi16ELi1ELi3EEviiiPKT0_S5_PT_PKfS9_ii@rel32@lo+4
	s_addc_u32 s5, s5, __PRETTY_FUNCTION__._Z17wvSplitKQ_hf_sml_I6__halfN3c1015Float8_e4m3fnuzELi64ELi4ELi16ELi16ELi1ELi3EEviiiPKT0_S5_PT_PKfS9_ii@rel32@hi+12
	v_mov_b32_e32 v0, 0x5c1
	v_mov_b32_e32 v1, s4
	;; [unrolled: 1-line block ×3, first 2 shown]
	s_mov_b32 s32, 0
	s_getpc_b64 s[6:7]
	s_add_u32 s6, s6, __assert_fail@rel32@lo+4
	s_addc_u32 s7, s7, __assert_fail@rel32@hi+12
	s_swappc_b64 s[30:31], s[6:7]
	.section	.rodata,"a",@progbits
	.p2align	6, 0x0
	.amdhsa_kernel _Z17wvSplitKQ_hf_sml_I6__halfN3c1015Float8_e4m3fnuzELi64ELi4ELi16ELi16ELi1ELi3EEviiiPKT0_S5_PT_PKfS9_ii
		.amdhsa_group_segment_fixed_size 0
		.amdhsa_private_segment_fixed_size 64
		.amdhsa_kernarg_size 320
		.amdhsa_user_sgpr_count 8
		.amdhsa_user_sgpr_private_segment_buffer 1
		.amdhsa_user_sgpr_dispatch_ptr 0
		.amdhsa_user_sgpr_queue_ptr 0
		.amdhsa_user_sgpr_kernarg_segment_ptr 1
		.amdhsa_user_sgpr_dispatch_id 0
		.amdhsa_user_sgpr_flat_scratch_init 1
		.amdhsa_user_sgpr_kernarg_preload_length 0
		.amdhsa_user_sgpr_kernarg_preload_offset 0
		.amdhsa_user_sgpr_private_segment_size 0
		.amdhsa_uses_dynamic_stack 0
		.amdhsa_system_sgpr_private_segment_wavefront_offset 1
		.amdhsa_system_sgpr_workgroup_id_x 1
		.amdhsa_system_sgpr_workgroup_id_y 0
		.amdhsa_system_sgpr_workgroup_id_z 0
		.amdhsa_system_sgpr_workgroup_info 0
		.amdhsa_system_vgpr_workitem_id 0
		.amdhsa_next_free_vgpr 49
		.amdhsa_next_free_sgpr 34
		.amdhsa_accum_offset 52
		.amdhsa_reserve_vcc 1
		.amdhsa_reserve_flat_scratch 1
		.amdhsa_float_round_mode_32 0
		.amdhsa_float_round_mode_16_64 0
		.amdhsa_float_denorm_mode_32 3
		.amdhsa_float_denorm_mode_16_64 3
		.amdhsa_dx10_clamp 1
		.amdhsa_ieee_mode 1
		.amdhsa_fp16_overflow 0
		.amdhsa_tg_split 0
		.amdhsa_exception_fp_ieee_invalid_op 0
		.amdhsa_exception_fp_denorm_src 0
		.amdhsa_exception_fp_ieee_div_zero 0
		.amdhsa_exception_fp_ieee_overflow 0
		.amdhsa_exception_fp_ieee_underflow 0
		.amdhsa_exception_fp_ieee_inexact 0
		.amdhsa_exception_int_div_zero 0
	.end_amdhsa_kernel
	.section	.text._Z17wvSplitKQ_hf_sml_I6__halfN3c1015Float8_e4m3fnuzELi64ELi4ELi16ELi16ELi1ELi3EEviiiPKT0_S5_PT_PKfS9_ii,"axG",@progbits,_Z17wvSplitKQ_hf_sml_I6__halfN3c1015Float8_e4m3fnuzELi64ELi4ELi16ELi16ELi1ELi3EEviiiPKT0_S5_PT_PKfS9_ii,comdat
.Lfunc_end46:
	.size	_Z17wvSplitKQ_hf_sml_I6__halfN3c1015Float8_e4m3fnuzELi64ELi4ELi16ELi16ELi1ELi3EEviiiPKT0_S5_PT_PKfS9_ii, .Lfunc_end46-_Z17wvSplitKQ_hf_sml_I6__halfN3c1015Float8_e4m3fnuzELi64ELi4ELi16ELi16ELi1ELi3EEviiiPKT0_S5_PT_PKfS9_ii
                                        ; -- End function
	.section	.AMDGPU.csdata,"",@progbits
; Kernel info:
; codeLenInByte = 88
; NumSgprs: 40
; NumVgprs: 49
; NumAgprs: 0
; TotalNumVgprs: 49
; ScratchSize: 64
; MemoryBound: 0
; FloatMode: 240
; IeeeMode: 1
; LDSByteSize: 0 bytes/workgroup (compile time only)
; SGPRBlocks: 4
; VGPRBlocks: 6
; NumSGPRsForWavesPerEU: 40
; NumVGPRsForWavesPerEU: 49
; AccumOffset: 52
; Occupancy: 8
; WaveLimiterHint : 1
; COMPUTE_PGM_RSRC2:SCRATCH_EN: 1
; COMPUTE_PGM_RSRC2:USER_SGPR: 8
; COMPUTE_PGM_RSRC2:TRAP_HANDLER: 0
; COMPUTE_PGM_RSRC2:TGID_X_EN: 1
; COMPUTE_PGM_RSRC2:TGID_Y_EN: 0
; COMPUTE_PGM_RSRC2:TGID_Z_EN: 0
; COMPUTE_PGM_RSRC2:TIDIG_COMP_CNT: 0
; COMPUTE_PGM_RSRC3_GFX90A:ACCUM_OFFSET: 12
; COMPUTE_PGM_RSRC3_GFX90A:TG_SPLIT: 0
	.section	.text._Z13wvSplitKQ_hf_I6__halfN3c1015Float8_e4m3fnuzELi64ELi7ELi16ELi16ELi1ELi3EEviiiPKT0_S5_PT_PKfS9_ii,"axG",@progbits,_Z13wvSplitKQ_hf_I6__halfN3c1015Float8_e4m3fnuzELi64ELi7ELi16ELi16ELi1ELi3EEviiiPKT0_S5_PT_PKfS9_ii,comdat
	.protected	_Z13wvSplitKQ_hf_I6__halfN3c1015Float8_e4m3fnuzELi64ELi7ELi16ELi16ELi1ELi3EEviiiPKT0_S5_PT_PKfS9_ii ; -- Begin function _Z13wvSplitKQ_hf_I6__halfN3c1015Float8_e4m3fnuzELi64ELi7ELi16ELi16ELi1ELi3EEviiiPKT0_S5_PT_PKfS9_ii
	.globl	_Z13wvSplitKQ_hf_I6__halfN3c1015Float8_e4m3fnuzELi64ELi7ELi16ELi16ELi1ELi3EEviiiPKT0_S5_PT_PKfS9_ii
	.p2align	8
	.type	_Z13wvSplitKQ_hf_I6__halfN3c1015Float8_e4m3fnuzELi64ELi7ELi16ELi16ELi1ELi3EEviiiPKT0_S5_PT_PKfS9_ii,@function
_Z13wvSplitKQ_hf_I6__halfN3c1015Float8_e4m3fnuzELi64ELi7ELi16ELi16ELi1ELi3EEviiiPKT0_S5_PT_PKfS9_ii: ; @_Z13wvSplitKQ_hf_I6__halfN3c1015Float8_e4m3fnuzELi64ELi7ELi16ELi16ELi1ELi3EEviiiPKT0_S5_PT_PKfS9_ii
; %bb.0:
	s_add_u32 flat_scratch_lo, s6, s9
	s_addc_u32 flat_scratch_hi, s7, 0
	s_add_u32 s0, s0, s9
	s_addc_u32 s1, s1, 0
	s_add_u32 s8, s4, 64
	s_addc_u32 s9, s5, 0
	s_getpc_b64 s[4:5]
	s_add_u32 s4, s4, __PRETTY_FUNCTION__._Z13wvSplitKQ_hf_I6__halfN3c1015Float8_e4m3fnuzELi64ELi7ELi16ELi16ELi1ELi3EEviiiPKT0_S5_PT_PKfS9_ii@rel32@lo+4
	s_addc_u32 s5, s5, __PRETTY_FUNCTION__._Z13wvSplitKQ_hf_I6__halfN3c1015Float8_e4m3fnuzELi64ELi7ELi16ELi16ELi1ELi3EEviiiPKT0_S5_PT_PKfS9_ii@rel32@hi+12
	v_mov_b32_e32 v0, 0x66e
	v_mov_b32_e32 v1, s4
	;; [unrolled: 1-line block ×3, first 2 shown]
	s_mov_b32 s32, 0
	s_getpc_b64 s[6:7]
	s_add_u32 s6, s6, __assert_fail@rel32@lo+4
	s_addc_u32 s7, s7, __assert_fail@rel32@hi+12
	s_swappc_b64 s[30:31], s[6:7]
	.section	.rodata,"a",@progbits
	.p2align	6, 0x0
	.amdhsa_kernel _Z13wvSplitKQ_hf_I6__halfN3c1015Float8_e4m3fnuzELi64ELi7ELi16ELi16ELi1ELi3EEviiiPKT0_S5_PT_PKfS9_ii
		.amdhsa_group_segment_fixed_size 0
		.amdhsa_private_segment_fixed_size 64
		.amdhsa_kernarg_size 320
		.amdhsa_user_sgpr_count 8
		.amdhsa_user_sgpr_private_segment_buffer 1
		.amdhsa_user_sgpr_dispatch_ptr 0
		.amdhsa_user_sgpr_queue_ptr 0
		.amdhsa_user_sgpr_kernarg_segment_ptr 1
		.amdhsa_user_sgpr_dispatch_id 0
		.amdhsa_user_sgpr_flat_scratch_init 1
		.amdhsa_user_sgpr_kernarg_preload_length 0
		.amdhsa_user_sgpr_kernarg_preload_offset 0
		.amdhsa_user_sgpr_private_segment_size 0
		.amdhsa_uses_dynamic_stack 0
		.amdhsa_system_sgpr_private_segment_wavefront_offset 1
		.amdhsa_system_sgpr_workgroup_id_x 1
		.amdhsa_system_sgpr_workgroup_id_y 0
		.amdhsa_system_sgpr_workgroup_id_z 0
		.amdhsa_system_sgpr_workgroup_info 0
		.amdhsa_system_vgpr_workitem_id 0
		.amdhsa_next_free_vgpr 49
		.amdhsa_next_free_sgpr 34
		.amdhsa_accum_offset 52
		.amdhsa_reserve_vcc 1
		.amdhsa_reserve_flat_scratch 1
		.amdhsa_float_round_mode_32 0
		.amdhsa_float_round_mode_16_64 0
		.amdhsa_float_denorm_mode_32 3
		.amdhsa_float_denorm_mode_16_64 3
		.amdhsa_dx10_clamp 1
		.amdhsa_ieee_mode 1
		.amdhsa_fp16_overflow 0
		.amdhsa_tg_split 0
		.amdhsa_exception_fp_ieee_invalid_op 0
		.amdhsa_exception_fp_denorm_src 0
		.amdhsa_exception_fp_ieee_div_zero 0
		.amdhsa_exception_fp_ieee_overflow 0
		.amdhsa_exception_fp_ieee_underflow 0
		.amdhsa_exception_fp_ieee_inexact 0
		.amdhsa_exception_int_div_zero 0
	.end_amdhsa_kernel
	.section	.text._Z13wvSplitKQ_hf_I6__halfN3c1015Float8_e4m3fnuzELi64ELi7ELi16ELi16ELi1ELi3EEviiiPKT0_S5_PT_PKfS9_ii,"axG",@progbits,_Z13wvSplitKQ_hf_I6__halfN3c1015Float8_e4m3fnuzELi64ELi7ELi16ELi16ELi1ELi3EEviiiPKT0_S5_PT_PKfS9_ii,comdat
.Lfunc_end47:
	.size	_Z13wvSplitKQ_hf_I6__halfN3c1015Float8_e4m3fnuzELi64ELi7ELi16ELi16ELi1ELi3EEviiiPKT0_S5_PT_PKfS9_ii, .Lfunc_end47-_Z13wvSplitKQ_hf_I6__halfN3c1015Float8_e4m3fnuzELi64ELi7ELi16ELi16ELi1ELi3EEviiiPKT0_S5_PT_PKfS9_ii
                                        ; -- End function
	.section	.AMDGPU.csdata,"",@progbits
; Kernel info:
; codeLenInByte = 88
; NumSgprs: 40
; NumVgprs: 49
; NumAgprs: 0
; TotalNumVgprs: 49
; ScratchSize: 64
; MemoryBound: 0
; FloatMode: 240
; IeeeMode: 1
; LDSByteSize: 0 bytes/workgroup (compile time only)
; SGPRBlocks: 4
; VGPRBlocks: 6
; NumSGPRsForWavesPerEU: 40
; NumVGPRsForWavesPerEU: 49
; AccumOffset: 52
; Occupancy: 8
; WaveLimiterHint : 1
; COMPUTE_PGM_RSRC2:SCRATCH_EN: 1
; COMPUTE_PGM_RSRC2:USER_SGPR: 8
; COMPUTE_PGM_RSRC2:TRAP_HANDLER: 0
; COMPUTE_PGM_RSRC2:TGID_X_EN: 1
; COMPUTE_PGM_RSRC2:TGID_Y_EN: 0
; COMPUTE_PGM_RSRC2:TGID_Z_EN: 0
; COMPUTE_PGM_RSRC2:TIDIG_COMP_CNT: 0
; COMPUTE_PGM_RSRC3_GFX90A:ACCUM_OFFSET: 12
; COMPUTE_PGM_RSRC3_GFX90A:TG_SPLIT: 0
	.section	.text._Z17wvSplitKQ_hf_sml_I6__halfN3c1015Float8_e4m3fnuzELi64ELi4ELi16ELi16ELi1ELi4EEviiiPKT0_S5_PT_PKfS9_ii,"axG",@progbits,_Z17wvSplitKQ_hf_sml_I6__halfN3c1015Float8_e4m3fnuzELi64ELi4ELi16ELi16ELi1ELi4EEviiiPKT0_S5_PT_PKfS9_ii,comdat
	.protected	_Z17wvSplitKQ_hf_sml_I6__halfN3c1015Float8_e4m3fnuzELi64ELi4ELi16ELi16ELi1ELi4EEviiiPKT0_S5_PT_PKfS9_ii ; -- Begin function _Z17wvSplitKQ_hf_sml_I6__halfN3c1015Float8_e4m3fnuzELi64ELi4ELi16ELi16ELi1ELi4EEviiiPKT0_S5_PT_PKfS9_ii
	.globl	_Z17wvSplitKQ_hf_sml_I6__halfN3c1015Float8_e4m3fnuzELi64ELi4ELi16ELi16ELi1ELi4EEviiiPKT0_S5_PT_PKfS9_ii
	.p2align	8
	.type	_Z17wvSplitKQ_hf_sml_I6__halfN3c1015Float8_e4m3fnuzELi64ELi4ELi16ELi16ELi1ELi4EEviiiPKT0_S5_PT_PKfS9_ii,@function
_Z17wvSplitKQ_hf_sml_I6__halfN3c1015Float8_e4m3fnuzELi64ELi4ELi16ELi16ELi1ELi4EEviiiPKT0_S5_PT_PKfS9_ii: ; @_Z17wvSplitKQ_hf_sml_I6__halfN3c1015Float8_e4m3fnuzELi64ELi4ELi16ELi16ELi1ELi4EEviiiPKT0_S5_PT_PKfS9_ii
; %bb.0:
	s_add_u32 flat_scratch_lo, s6, s9
	s_addc_u32 flat_scratch_hi, s7, 0
	s_add_u32 s0, s0, s9
	s_addc_u32 s1, s1, 0
	s_add_u32 s8, s4, 64
	s_addc_u32 s9, s5, 0
	s_getpc_b64 s[4:5]
	s_add_u32 s4, s4, __PRETTY_FUNCTION__._Z17wvSplitKQ_hf_sml_I6__halfN3c1015Float8_e4m3fnuzELi64ELi4ELi16ELi16ELi1ELi4EEviiiPKT0_S5_PT_PKfS9_ii@rel32@lo+4
	s_addc_u32 s5, s5, __PRETTY_FUNCTION__._Z17wvSplitKQ_hf_sml_I6__halfN3c1015Float8_e4m3fnuzELi64ELi4ELi16ELi16ELi1ELi4EEviiiPKT0_S5_PT_PKfS9_ii@rel32@hi+12
	v_mov_b32_e32 v0, 0x5c1
	v_mov_b32_e32 v1, s4
	;; [unrolled: 1-line block ×3, first 2 shown]
	s_mov_b32 s32, 0
	s_getpc_b64 s[6:7]
	s_add_u32 s6, s6, __assert_fail@rel32@lo+4
	s_addc_u32 s7, s7, __assert_fail@rel32@hi+12
	s_swappc_b64 s[30:31], s[6:7]
	.section	.rodata,"a",@progbits
	.p2align	6, 0x0
	.amdhsa_kernel _Z17wvSplitKQ_hf_sml_I6__halfN3c1015Float8_e4m3fnuzELi64ELi4ELi16ELi16ELi1ELi4EEviiiPKT0_S5_PT_PKfS9_ii
		.amdhsa_group_segment_fixed_size 0
		.amdhsa_private_segment_fixed_size 64
		.amdhsa_kernarg_size 320
		.amdhsa_user_sgpr_count 8
		.amdhsa_user_sgpr_private_segment_buffer 1
		.amdhsa_user_sgpr_dispatch_ptr 0
		.amdhsa_user_sgpr_queue_ptr 0
		.amdhsa_user_sgpr_kernarg_segment_ptr 1
		.amdhsa_user_sgpr_dispatch_id 0
		.amdhsa_user_sgpr_flat_scratch_init 1
		.amdhsa_user_sgpr_kernarg_preload_length 0
		.amdhsa_user_sgpr_kernarg_preload_offset 0
		.amdhsa_user_sgpr_private_segment_size 0
		.amdhsa_uses_dynamic_stack 0
		.amdhsa_system_sgpr_private_segment_wavefront_offset 1
		.amdhsa_system_sgpr_workgroup_id_x 1
		.amdhsa_system_sgpr_workgroup_id_y 0
		.amdhsa_system_sgpr_workgroup_id_z 0
		.amdhsa_system_sgpr_workgroup_info 0
		.amdhsa_system_vgpr_workitem_id 0
		.amdhsa_next_free_vgpr 49
		.amdhsa_next_free_sgpr 34
		.amdhsa_accum_offset 52
		.amdhsa_reserve_vcc 1
		.amdhsa_reserve_flat_scratch 1
		.amdhsa_float_round_mode_32 0
		.amdhsa_float_round_mode_16_64 0
		.amdhsa_float_denorm_mode_32 3
		.amdhsa_float_denorm_mode_16_64 3
		.amdhsa_dx10_clamp 1
		.amdhsa_ieee_mode 1
		.amdhsa_fp16_overflow 0
		.amdhsa_tg_split 0
		.amdhsa_exception_fp_ieee_invalid_op 0
		.amdhsa_exception_fp_denorm_src 0
		.amdhsa_exception_fp_ieee_div_zero 0
		.amdhsa_exception_fp_ieee_overflow 0
		.amdhsa_exception_fp_ieee_underflow 0
		.amdhsa_exception_fp_ieee_inexact 0
		.amdhsa_exception_int_div_zero 0
	.end_amdhsa_kernel
	.section	.text._Z17wvSplitKQ_hf_sml_I6__halfN3c1015Float8_e4m3fnuzELi64ELi4ELi16ELi16ELi1ELi4EEviiiPKT0_S5_PT_PKfS9_ii,"axG",@progbits,_Z17wvSplitKQ_hf_sml_I6__halfN3c1015Float8_e4m3fnuzELi64ELi4ELi16ELi16ELi1ELi4EEviiiPKT0_S5_PT_PKfS9_ii,comdat
.Lfunc_end48:
	.size	_Z17wvSplitKQ_hf_sml_I6__halfN3c1015Float8_e4m3fnuzELi64ELi4ELi16ELi16ELi1ELi4EEviiiPKT0_S5_PT_PKfS9_ii, .Lfunc_end48-_Z17wvSplitKQ_hf_sml_I6__halfN3c1015Float8_e4m3fnuzELi64ELi4ELi16ELi16ELi1ELi4EEviiiPKT0_S5_PT_PKfS9_ii
                                        ; -- End function
	.section	.AMDGPU.csdata,"",@progbits
; Kernel info:
; codeLenInByte = 88
; NumSgprs: 40
; NumVgprs: 49
; NumAgprs: 0
; TotalNumVgprs: 49
; ScratchSize: 64
; MemoryBound: 0
; FloatMode: 240
; IeeeMode: 1
; LDSByteSize: 0 bytes/workgroup (compile time only)
; SGPRBlocks: 4
; VGPRBlocks: 6
; NumSGPRsForWavesPerEU: 40
; NumVGPRsForWavesPerEU: 49
; AccumOffset: 52
; Occupancy: 8
; WaveLimiterHint : 1
; COMPUTE_PGM_RSRC2:SCRATCH_EN: 1
; COMPUTE_PGM_RSRC2:USER_SGPR: 8
; COMPUTE_PGM_RSRC2:TRAP_HANDLER: 0
; COMPUTE_PGM_RSRC2:TGID_X_EN: 1
; COMPUTE_PGM_RSRC2:TGID_Y_EN: 0
; COMPUTE_PGM_RSRC2:TGID_Z_EN: 0
; COMPUTE_PGM_RSRC2:TIDIG_COMP_CNT: 0
; COMPUTE_PGM_RSRC3_GFX90A:ACCUM_OFFSET: 12
; COMPUTE_PGM_RSRC3_GFX90A:TG_SPLIT: 0
	.section	.text._Z13wvSplitKQ_hf_I6__halfN3c1015Float8_e4m3fnuzELi64ELi7ELi16ELi16ELi1ELi4EEviiiPKT0_S5_PT_PKfS9_ii,"axG",@progbits,_Z13wvSplitKQ_hf_I6__halfN3c1015Float8_e4m3fnuzELi64ELi7ELi16ELi16ELi1ELi4EEviiiPKT0_S5_PT_PKfS9_ii,comdat
	.protected	_Z13wvSplitKQ_hf_I6__halfN3c1015Float8_e4m3fnuzELi64ELi7ELi16ELi16ELi1ELi4EEviiiPKT0_S5_PT_PKfS9_ii ; -- Begin function _Z13wvSplitKQ_hf_I6__halfN3c1015Float8_e4m3fnuzELi64ELi7ELi16ELi16ELi1ELi4EEviiiPKT0_S5_PT_PKfS9_ii
	.globl	_Z13wvSplitKQ_hf_I6__halfN3c1015Float8_e4m3fnuzELi64ELi7ELi16ELi16ELi1ELi4EEviiiPKT0_S5_PT_PKfS9_ii
	.p2align	8
	.type	_Z13wvSplitKQ_hf_I6__halfN3c1015Float8_e4m3fnuzELi64ELi7ELi16ELi16ELi1ELi4EEviiiPKT0_S5_PT_PKfS9_ii,@function
_Z13wvSplitKQ_hf_I6__halfN3c1015Float8_e4m3fnuzELi64ELi7ELi16ELi16ELi1ELi4EEviiiPKT0_S5_PT_PKfS9_ii: ; @_Z13wvSplitKQ_hf_I6__halfN3c1015Float8_e4m3fnuzELi64ELi7ELi16ELi16ELi1ELi4EEviiiPKT0_S5_PT_PKfS9_ii
; %bb.0:
	s_add_u32 flat_scratch_lo, s6, s9
	s_addc_u32 flat_scratch_hi, s7, 0
	s_add_u32 s0, s0, s9
	s_addc_u32 s1, s1, 0
	s_add_u32 s8, s4, 64
	s_addc_u32 s9, s5, 0
	s_getpc_b64 s[4:5]
	s_add_u32 s4, s4, __PRETTY_FUNCTION__._Z13wvSplitKQ_hf_I6__halfN3c1015Float8_e4m3fnuzELi64ELi7ELi16ELi16ELi1ELi4EEviiiPKT0_S5_PT_PKfS9_ii@rel32@lo+4
	s_addc_u32 s5, s5, __PRETTY_FUNCTION__._Z13wvSplitKQ_hf_I6__halfN3c1015Float8_e4m3fnuzELi64ELi7ELi16ELi16ELi1ELi4EEviiiPKT0_S5_PT_PKfS9_ii@rel32@hi+12
	v_mov_b32_e32 v0, 0x66e
	v_mov_b32_e32 v1, s4
	;; [unrolled: 1-line block ×3, first 2 shown]
	s_mov_b32 s32, 0
	s_getpc_b64 s[6:7]
	s_add_u32 s6, s6, __assert_fail@rel32@lo+4
	s_addc_u32 s7, s7, __assert_fail@rel32@hi+12
	s_swappc_b64 s[30:31], s[6:7]
	.section	.rodata,"a",@progbits
	.p2align	6, 0x0
	.amdhsa_kernel _Z13wvSplitKQ_hf_I6__halfN3c1015Float8_e4m3fnuzELi64ELi7ELi16ELi16ELi1ELi4EEviiiPKT0_S5_PT_PKfS9_ii
		.amdhsa_group_segment_fixed_size 0
		.amdhsa_private_segment_fixed_size 64
		.amdhsa_kernarg_size 320
		.amdhsa_user_sgpr_count 8
		.amdhsa_user_sgpr_private_segment_buffer 1
		.amdhsa_user_sgpr_dispatch_ptr 0
		.amdhsa_user_sgpr_queue_ptr 0
		.amdhsa_user_sgpr_kernarg_segment_ptr 1
		.amdhsa_user_sgpr_dispatch_id 0
		.amdhsa_user_sgpr_flat_scratch_init 1
		.amdhsa_user_sgpr_kernarg_preload_length 0
		.amdhsa_user_sgpr_kernarg_preload_offset 0
		.amdhsa_user_sgpr_private_segment_size 0
		.amdhsa_uses_dynamic_stack 0
		.amdhsa_system_sgpr_private_segment_wavefront_offset 1
		.amdhsa_system_sgpr_workgroup_id_x 1
		.amdhsa_system_sgpr_workgroup_id_y 0
		.amdhsa_system_sgpr_workgroup_id_z 0
		.amdhsa_system_sgpr_workgroup_info 0
		.amdhsa_system_vgpr_workitem_id 0
		.amdhsa_next_free_vgpr 49
		.amdhsa_next_free_sgpr 34
		.amdhsa_accum_offset 52
		.amdhsa_reserve_vcc 1
		.amdhsa_reserve_flat_scratch 1
		.amdhsa_float_round_mode_32 0
		.amdhsa_float_round_mode_16_64 0
		.amdhsa_float_denorm_mode_32 3
		.amdhsa_float_denorm_mode_16_64 3
		.amdhsa_dx10_clamp 1
		.amdhsa_ieee_mode 1
		.amdhsa_fp16_overflow 0
		.amdhsa_tg_split 0
		.amdhsa_exception_fp_ieee_invalid_op 0
		.amdhsa_exception_fp_denorm_src 0
		.amdhsa_exception_fp_ieee_div_zero 0
		.amdhsa_exception_fp_ieee_overflow 0
		.amdhsa_exception_fp_ieee_underflow 0
		.amdhsa_exception_fp_ieee_inexact 0
		.amdhsa_exception_int_div_zero 0
	.end_amdhsa_kernel
	.section	.text._Z13wvSplitKQ_hf_I6__halfN3c1015Float8_e4m3fnuzELi64ELi7ELi16ELi16ELi1ELi4EEviiiPKT0_S5_PT_PKfS9_ii,"axG",@progbits,_Z13wvSplitKQ_hf_I6__halfN3c1015Float8_e4m3fnuzELi64ELi7ELi16ELi16ELi1ELi4EEviiiPKT0_S5_PT_PKfS9_ii,comdat
.Lfunc_end49:
	.size	_Z13wvSplitKQ_hf_I6__halfN3c1015Float8_e4m3fnuzELi64ELi7ELi16ELi16ELi1ELi4EEviiiPKT0_S5_PT_PKfS9_ii, .Lfunc_end49-_Z13wvSplitKQ_hf_I6__halfN3c1015Float8_e4m3fnuzELi64ELi7ELi16ELi16ELi1ELi4EEviiiPKT0_S5_PT_PKfS9_ii
                                        ; -- End function
	.section	.AMDGPU.csdata,"",@progbits
; Kernel info:
; codeLenInByte = 88
; NumSgprs: 40
; NumVgprs: 49
; NumAgprs: 0
; TotalNumVgprs: 49
; ScratchSize: 64
; MemoryBound: 0
; FloatMode: 240
; IeeeMode: 1
; LDSByteSize: 0 bytes/workgroup (compile time only)
; SGPRBlocks: 4
; VGPRBlocks: 6
; NumSGPRsForWavesPerEU: 40
; NumVGPRsForWavesPerEU: 49
; AccumOffset: 52
; Occupancy: 8
; WaveLimiterHint : 1
; COMPUTE_PGM_RSRC2:SCRATCH_EN: 1
; COMPUTE_PGM_RSRC2:USER_SGPR: 8
; COMPUTE_PGM_RSRC2:TRAP_HANDLER: 0
; COMPUTE_PGM_RSRC2:TGID_X_EN: 1
; COMPUTE_PGM_RSRC2:TGID_Y_EN: 0
; COMPUTE_PGM_RSRC2:TGID_Z_EN: 0
; COMPUTE_PGM_RSRC2:TIDIG_COMP_CNT: 0
; COMPUTE_PGM_RSRC3_GFX90A:ACCUM_OFFSET: 12
; COMPUTE_PGM_RSRC3_GFX90A:TG_SPLIT: 0
	.section	.text._Z17wvSplitKQ_hf_sml_I14__hip_bfloat16N3c1013Float8_e4m3fnELi64ELi2ELi16ELi16ELi2ELi1EEviiiPKT0_S5_PT_PKfS9_ii,"axG",@progbits,_Z17wvSplitKQ_hf_sml_I14__hip_bfloat16N3c1013Float8_e4m3fnELi64ELi2ELi16ELi16ELi2ELi1EEviiiPKT0_S5_PT_PKfS9_ii,comdat
	.protected	_Z17wvSplitKQ_hf_sml_I14__hip_bfloat16N3c1013Float8_e4m3fnELi64ELi2ELi16ELi16ELi2ELi1EEviiiPKT0_S5_PT_PKfS9_ii ; -- Begin function _Z17wvSplitKQ_hf_sml_I14__hip_bfloat16N3c1013Float8_e4m3fnELi64ELi2ELi16ELi16ELi2ELi1EEviiiPKT0_S5_PT_PKfS9_ii
	.globl	_Z17wvSplitKQ_hf_sml_I14__hip_bfloat16N3c1013Float8_e4m3fnELi64ELi2ELi16ELi16ELi2ELi1EEviiiPKT0_S5_PT_PKfS9_ii
	.p2align	8
	.type	_Z17wvSplitKQ_hf_sml_I14__hip_bfloat16N3c1013Float8_e4m3fnELi64ELi2ELi16ELi16ELi2ELi1EEviiiPKT0_S5_PT_PKfS9_ii,@function
_Z17wvSplitKQ_hf_sml_I14__hip_bfloat16N3c1013Float8_e4m3fnELi64ELi2ELi16ELi16ELi2ELi1EEviiiPKT0_S5_PT_PKfS9_ii: ; @_Z17wvSplitKQ_hf_sml_I14__hip_bfloat16N3c1013Float8_e4m3fnELi64ELi2ELi16ELi16ELi2ELi1EEviiiPKT0_S5_PT_PKfS9_ii
; %bb.0:
	s_add_u32 flat_scratch_lo, s6, s9
	s_addc_u32 flat_scratch_hi, s7, 0
	s_add_u32 s0, s0, s9
	s_addc_u32 s1, s1, 0
	s_add_u32 s8, s4, 64
	s_addc_u32 s9, s5, 0
	s_getpc_b64 s[4:5]
	s_add_u32 s4, s4, __PRETTY_FUNCTION__._Z17wvSplitKQ_hf_sml_I14__hip_bfloat16N3c1013Float8_e4m3fnELi64ELi2ELi16ELi16ELi2ELi1EEviiiPKT0_S5_PT_PKfS9_ii@rel32@lo+4
	s_addc_u32 s5, s5, __PRETTY_FUNCTION__._Z17wvSplitKQ_hf_sml_I14__hip_bfloat16N3c1013Float8_e4m3fnELi64ELi2ELi16ELi16ELi2ELi1EEviiiPKT0_S5_PT_PKfS9_ii@rel32@hi+12
	v_mov_b32_e32 v0, 0x5c1
	v_mov_b32_e32 v1, s4
	v_mov_b32_e32 v2, s5
	s_mov_b32 s32, 0
	s_getpc_b64 s[6:7]
	s_add_u32 s6, s6, __assert_fail@rel32@lo+4
	s_addc_u32 s7, s7, __assert_fail@rel32@hi+12
	s_swappc_b64 s[30:31], s[6:7]
	.section	.rodata,"a",@progbits
	.p2align	6, 0x0
	.amdhsa_kernel _Z17wvSplitKQ_hf_sml_I14__hip_bfloat16N3c1013Float8_e4m3fnELi64ELi2ELi16ELi16ELi2ELi1EEviiiPKT0_S5_PT_PKfS9_ii
		.amdhsa_group_segment_fixed_size 0
		.amdhsa_private_segment_fixed_size 64
		.amdhsa_kernarg_size 320
		.amdhsa_user_sgpr_count 8
		.amdhsa_user_sgpr_private_segment_buffer 1
		.amdhsa_user_sgpr_dispatch_ptr 0
		.amdhsa_user_sgpr_queue_ptr 0
		.amdhsa_user_sgpr_kernarg_segment_ptr 1
		.amdhsa_user_sgpr_dispatch_id 0
		.amdhsa_user_sgpr_flat_scratch_init 1
		.amdhsa_user_sgpr_kernarg_preload_length 0
		.amdhsa_user_sgpr_kernarg_preload_offset 0
		.amdhsa_user_sgpr_private_segment_size 0
		.amdhsa_uses_dynamic_stack 0
		.amdhsa_system_sgpr_private_segment_wavefront_offset 1
		.amdhsa_system_sgpr_workgroup_id_x 1
		.amdhsa_system_sgpr_workgroup_id_y 0
		.amdhsa_system_sgpr_workgroup_id_z 0
		.amdhsa_system_sgpr_workgroup_info 0
		.amdhsa_system_vgpr_workitem_id 0
		.amdhsa_next_free_vgpr 49
		.amdhsa_next_free_sgpr 34
		.amdhsa_accum_offset 52
		.amdhsa_reserve_vcc 1
		.amdhsa_reserve_flat_scratch 1
		.amdhsa_float_round_mode_32 0
		.amdhsa_float_round_mode_16_64 0
		.amdhsa_float_denorm_mode_32 3
		.amdhsa_float_denorm_mode_16_64 3
		.amdhsa_dx10_clamp 1
		.amdhsa_ieee_mode 1
		.amdhsa_fp16_overflow 0
		.amdhsa_tg_split 0
		.amdhsa_exception_fp_ieee_invalid_op 0
		.amdhsa_exception_fp_denorm_src 0
		.amdhsa_exception_fp_ieee_div_zero 0
		.amdhsa_exception_fp_ieee_overflow 0
		.amdhsa_exception_fp_ieee_underflow 0
		.amdhsa_exception_fp_ieee_inexact 0
		.amdhsa_exception_int_div_zero 0
	.end_amdhsa_kernel
	.section	.text._Z17wvSplitKQ_hf_sml_I14__hip_bfloat16N3c1013Float8_e4m3fnELi64ELi2ELi16ELi16ELi2ELi1EEviiiPKT0_S5_PT_PKfS9_ii,"axG",@progbits,_Z17wvSplitKQ_hf_sml_I14__hip_bfloat16N3c1013Float8_e4m3fnELi64ELi2ELi16ELi16ELi2ELi1EEviiiPKT0_S5_PT_PKfS9_ii,comdat
.Lfunc_end50:
	.size	_Z17wvSplitKQ_hf_sml_I14__hip_bfloat16N3c1013Float8_e4m3fnELi64ELi2ELi16ELi16ELi2ELi1EEviiiPKT0_S5_PT_PKfS9_ii, .Lfunc_end50-_Z17wvSplitKQ_hf_sml_I14__hip_bfloat16N3c1013Float8_e4m3fnELi64ELi2ELi16ELi16ELi2ELi1EEviiiPKT0_S5_PT_PKfS9_ii
                                        ; -- End function
	.section	.AMDGPU.csdata,"",@progbits
; Kernel info:
; codeLenInByte = 88
; NumSgprs: 40
; NumVgprs: 49
; NumAgprs: 0
; TotalNumVgprs: 49
; ScratchSize: 64
; MemoryBound: 0
; FloatMode: 240
; IeeeMode: 1
; LDSByteSize: 0 bytes/workgroup (compile time only)
; SGPRBlocks: 4
; VGPRBlocks: 6
; NumSGPRsForWavesPerEU: 40
; NumVGPRsForWavesPerEU: 49
; AccumOffset: 52
; Occupancy: 8
; WaveLimiterHint : 1
; COMPUTE_PGM_RSRC2:SCRATCH_EN: 1
; COMPUTE_PGM_RSRC2:USER_SGPR: 8
; COMPUTE_PGM_RSRC2:TRAP_HANDLER: 0
; COMPUTE_PGM_RSRC2:TGID_X_EN: 1
; COMPUTE_PGM_RSRC2:TGID_Y_EN: 0
; COMPUTE_PGM_RSRC2:TGID_Z_EN: 0
; COMPUTE_PGM_RSRC2:TIDIG_COMP_CNT: 0
; COMPUTE_PGM_RSRC3_GFX90A:ACCUM_OFFSET: 12
; COMPUTE_PGM_RSRC3_GFX90A:TG_SPLIT: 0
	.section	.text._Z13wvSplitKQ_hf_I14__hip_bfloat16N3c1013Float8_e4m3fnELi64ELi2ELi16ELi16ELi2ELi1EEviiiPKT0_S5_PT_PKfS9_ii,"axG",@progbits,_Z13wvSplitKQ_hf_I14__hip_bfloat16N3c1013Float8_e4m3fnELi64ELi2ELi16ELi16ELi2ELi1EEviiiPKT0_S5_PT_PKfS9_ii,comdat
	.protected	_Z13wvSplitKQ_hf_I14__hip_bfloat16N3c1013Float8_e4m3fnELi64ELi2ELi16ELi16ELi2ELi1EEviiiPKT0_S5_PT_PKfS9_ii ; -- Begin function _Z13wvSplitKQ_hf_I14__hip_bfloat16N3c1013Float8_e4m3fnELi64ELi2ELi16ELi16ELi2ELi1EEviiiPKT0_S5_PT_PKfS9_ii
	.globl	_Z13wvSplitKQ_hf_I14__hip_bfloat16N3c1013Float8_e4m3fnELi64ELi2ELi16ELi16ELi2ELi1EEviiiPKT0_S5_PT_PKfS9_ii
	.p2align	8
	.type	_Z13wvSplitKQ_hf_I14__hip_bfloat16N3c1013Float8_e4m3fnELi64ELi2ELi16ELi16ELi2ELi1EEviiiPKT0_S5_PT_PKfS9_ii,@function
_Z13wvSplitKQ_hf_I14__hip_bfloat16N3c1013Float8_e4m3fnELi64ELi2ELi16ELi16ELi2ELi1EEviiiPKT0_S5_PT_PKfS9_ii: ; @_Z13wvSplitKQ_hf_I14__hip_bfloat16N3c1013Float8_e4m3fnELi64ELi2ELi16ELi16ELi2ELi1EEviiiPKT0_S5_PT_PKfS9_ii
; %bb.0:
	s_add_u32 flat_scratch_lo, s6, s9
	s_addc_u32 flat_scratch_hi, s7, 0
	s_add_u32 s0, s0, s9
	s_addc_u32 s1, s1, 0
	s_add_u32 s8, s4, 64
	s_addc_u32 s9, s5, 0
	s_getpc_b64 s[4:5]
	s_add_u32 s4, s4, __PRETTY_FUNCTION__._Z13wvSplitKQ_hf_I14__hip_bfloat16N3c1013Float8_e4m3fnELi64ELi2ELi16ELi16ELi2ELi1EEviiiPKT0_S5_PT_PKfS9_ii@rel32@lo+4
	s_addc_u32 s5, s5, __PRETTY_FUNCTION__._Z13wvSplitKQ_hf_I14__hip_bfloat16N3c1013Float8_e4m3fnELi64ELi2ELi16ELi16ELi2ELi1EEviiiPKT0_S5_PT_PKfS9_ii@rel32@hi+12
	v_mov_b32_e32 v0, 0x66e
	v_mov_b32_e32 v1, s4
	;; [unrolled: 1-line block ×3, first 2 shown]
	s_mov_b32 s32, 0
	s_getpc_b64 s[6:7]
	s_add_u32 s6, s6, __assert_fail@rel32@lo+4
	s_addc_u32 s7, s7, __assert_fail@rel32@hi+12
	s_swappc_b64 s[30:31], s[6:7]
	.section	.rodata,"a",@progbits
	.p2align	6, 0x0
	.amdhsa_kernel _Z13wvSplitKQ_hf_I14__hip_bfloat16N3c1013Float8_e4m3fnELi64ELi2ELi16ELi16ELi2ELi1EEviiiPKT0_S5_PT_PKfS9_ii
		.amdhsa_group_segment_fixed_size 0
		.amdhsa_private_segment_fixed_size 64
		.amdhsa_kernarg_size 320
		.amdhsa_user_sgpr_count 8
		.amdhsa_user_sgpr_private_segment_buffer 1
		.amdhsa_user_sgpr_dispatch_ptr 0
		.amdhsa_user_sgpr_queue_ptr 0
		.amdhsa_user_sgpr_kernarg_segment_ptr 1
		.amdhsa_user_sgpr_dispatch_id 0
		.amdhsa_user_sgpr_flat_scratch_init 1
		.amdhsa_user_sgpr_kernarg_preload_length 0
		.amdhsa_user_sgpr_kernarg_preload_offset 0
		.amdhsa_user_sgpr_private_segment_size 0
		.amdhsa_uses_dynamic_stack 0
		.amdhsa_system_sgpr_private_segment_wavefront_offset 1
		.amdhsa_system_sgpr_workgroup_id_x 1
		.amdhsa_system_sgpr_workgroup_id_y 0
		.amdhsa_system_sgpr_workgroup_id_z 0
		.amdhsa_system_sgpr_workgroup_info 0
		.amdhsa_system_vgpr_workitem_id 0
		.amdhsa_next_free_vgpr 49
		.amdhsa_next_free_sgpr 34
		.amdhsa_accum_offset 52
		.amdhsa_reserve_vcc 1
		.amdhsa_reserve_flat_scratch 1
		.amdhsa_float_round_mode_32 0
		.amdhsa_float_round_mode_16_64 0
		.amdhsa_float_denorm_mode_32 3
		.amdhsa_float_denorm_mode_16_64 3
		.amdhsa_dx10_clamp 1
		.amdhsa_ieee_mode 1
		.amdhsa_fp16_overflow 0
		.amdhsa_tg_split 0
		.amdhsa_exception_fp_ieee_invalid_op 0
		.amdhsa_exception_fp_denorm_src 0
		.amdhsa_exception_fp_ieee_div_zero 0
		.amdhsa_exception_fp_ieee_overflow 0
		.amdhsa_exception_fp_ieee_underflow 0
		.amdhsa_exception_fp_ieee_inexact 0
		.amdhsa_exception_int_div_zero 0
	.end_amdhsa_kernel
	.section	.text._Z13wvSplitKQ_hf_I14__hip_bfloat16N3c1013Float8_e4m3fnELi64ELi2ELi16ELi16ELi2ELi1EEviiiPKT0_S5_PT_PKfS9_ii,"axG",@progbits,_Z13wvSplitKQ_hf_I14__hip_bfloat16N3c1013Float8_e4m3fnELi64ELi2ELi16ELi16ELi2ELi1EEviiiPKT0_S5_PT_PKfS9_ii,comdat
.Lfunc_end51:
	.size	_Z13wvSplitKQ_hf_I14__hip_bfloat16N3c1013Float8_e4m3fnELi64ELi2ELi16ELi16ELi2ELi1EEviiiPKT0_S5_PT_PKfS9_ii, .Lfunc_end51-_Z13wvSplitKQ_hf_I14__hip_bfloat16N3c1013Float8_e4m3fnELi64ELi2ELi16ELi16ELi2ELi1EEviiiPKT0_S5_PT_PKfS9_ii
                                        ; -- End function
	.section	.AMDGPU.csdata,"",@progbits
; Kernel info:
; codeLenInByte = 88
; NumSgprs: 40
; NumVgprs: 49
; NumAgprs: 0
; TotalNumVgprs: 49
; ScratchSize: 64
; MemoryBound: 0
; FloatMode: 240
; IeeeMode: 1
; LDSByteSize: 0 bytes/workgroup (compile time only)
; SGPRBlocks: 4
; VGPRBlocks: 6
; NumSGPRsForWavesPerEU: 40
; NumVGPRsForWavesPerEU: 49
; AccumOffset: 52
; Occupancy: 8
; WaveLimiterHint : 1
; COMPUTE_PGM_RSRC2:SCRATCH_EN: 1
; COMPUTE_PGM_RSRC2:USER_SGPR: 8
; COMPUTE_PGM_RSRC2:TRAP_HANDLER: 0
; COMPUTE_PGM_RSRC2:TGID_X_EN: 1
; COMPUTE_PGM_RSRC2:TGID_Y_EN: 0
; COMPUTE_PGM_RSRC2:TGID_Z_EN: 0
; COMPUTE_PGM_RSRC2:TIDIG_COMP_CNT: 0
; COMPUTE_PGM_RSRC3_GFX90A:ACCUM_OFFSET: 12
; COMPUTE_PGM_RSRC3_GFX90A:TG_SPLIT: 0
	.section	.text._Z17wvSplitKQ_hf_sml_I14__hip_bfloat16N3c1013Float8_e4m3fnELi64ELi2ELi16ELi16ELi2ELi2EEviiiPKT0_S5_PT_PKfS9_ii,"axG",@progbits,_Z17wvSplitKQ_hf_sml_I14__hip_bfloat16N3c1013Float8_e4m3fnELi64ELi2ELi16ELi16ELi2ELi2EEviiiPKT0_S5_PT_PKfS9_ii,comdat
	.protected	_Z17wvSplitKQ_hf_sml_I14__hip_bfloat16N3c1013Float8_e4m3fnELi64ELi2ELi16ELi16ELi2ELi2EEviiiPKT0_S5_PT_PKfS9_ii ; -- Begin function _Z17wvSplitKQ_hf_sml_I14__hip_bfloat16N3c1013Float8_e4m3fnELi64ELi2ELi16ELi16ELi2ELi2EEviiiPKT0_S5_PT_PKfS9_ii
	.globl	_Z17wvSplitKQ_hf_sml_I14__hip_bfloat16N3c1013Float8_e4m3fnELi64ELi2ELi16ELi16ELi2ELi2EEviiiPKT0_S5_PT_PKfS9_ii
	.p2align	8
	.type	_Z17wvSplitKQ_hf_sml_I14__hip_bfloat16N3c1013Float8_e4m3fnELi64ELi2ELi16ELi16ELi2ELi2EEviiiPKT0_S5_PT_PKfS9_ii,@function
_Z17wvSplitKQ_hf_sml_I14__hip_bfloat16N3c1013Float8_e4m3fnELi64ELi2ELi16ELi16ELi2ELi2EEviiiPKT0_S5_PT_PKfS9_ii: ; @_Z17wvSplitKQ_hf_sml_I14__hip_bfloat16N3c1013Float8_e4m3fnELi64ELi2ELi16ELi16ELi2ELi2EEviiiPKT0_S5_PT_PKfS9_ii
; %bb.0:
	s_add_u32 flat_scratch_lo, s6, s9
	s_addc_u32 flat_scratch_hi, s7, 0
	s_add_u32 s0, s0, s9
	s_addc_u32 s1, s1, 0
	s_add_u32 s8, s4, 64
	s_addc_u32 s9, s5, 0
	s_getpc_b64 s[4:5]
	s_add_u32 s4, s4, __PRETTY_FUNCTION__._Z17wvSplitKQ_hf_sml_I14__hip_bfloat16N3c1013Float8_e4m3fnELi64ELi2ELi16ELi16ELi2ELi2EEviiiPKT0_S5_PT_PKfS9_ii@rel32@lo+4
	s_addc_u32 s5, s5, __PRETTY_FUNCTION__._Z17wvSplitKQ_hf_sml_I14__hip_bfloat16N3c1013Float8_e4m3fnELi64ELi2ELi16ELi16ELi2ELi2EEviiiPKT0_S5_PT_PKfS9_ii@rel32@hi+12
	v_mov_b32_e32 v0, 0x5c1
	v_mov_b32_e32 v1, s4
	v_mov_b32_e32 v2, s5
	s_mov_b32 s32, 0
	s_getpc_b64 s[6:7]
	s_add_u32 s6, s6, __assert_fail@rel32@lo+4
	s_addc_u32 s7, s7, __assert_fail@rel32@hi+12
	s_swappc_b64 s[30:31], s[6:7]
	.section	.rodata,"a",@progbits
	.p2align	6, 0x0
	.amdhsa_kernel _Z17wvSplitKQ_hf_sml_I14__hip_bfloat16N3c1013Float8_e4m3fnELi64ELi2ELi16ELi16ELi2ELi2EEviiiPKT0_S5_PT_PKfS9_ii
		.amdhsa_group_segment_fixed_size 0
		.amdhsa_private_segment_fixed_size 64
		.amdhsa_kernarg_size 320
		.amdhsa_user_sgpr_count 8
		.amdhsa_user_sgpr_private_segment_buffer 1
		.amdhsa_user_sgpr_dispatch_ptr 0
		.amdhsa_user_sgpr_queue_ptr 0
		.amdhsa_user_sgpr_kernarg_segment_ptr 1
		.amdhsa_user_sgpr_dispatch_id 0
		.amdhsa_user_sgpr_flat_scratch_init 1
		.amdhsa_user_sgpr_kernarg_preload_length 0
		.amdhsa_user_sgpr_kernarg_preload_offset 0
		.amdhsa_user_sgpr_private_segment_size 0
		.amdhsa_uses_dynamic_stack 0
		.amdhsa_system_sgpr_private_segment_wavefront_offset 1
		.amdhsa_system_sgpr_workgroup_id_x 1
		.amdhsa_system_sgpr_workgroup_id_y 0
		.amdhsa_system_sgpr_workgroup_id_z 0
		.amdhsa_system_sgpr_workgroup_info 0
		.amdhsa_system_vgpr_workitem_id 0
		.amdhsa_next_free_vgpr 49
		.amdhsa_next_free_sgpr 34
		.amdhsa_accum_offset 52
		.amdhsa_reserve_vcc 1
		.amdhsa_reserve_flat_scratch 1
		.amdhsa_float_round_mode_32 0
		.amdhsa_float_round_mode_16_64 0
		.amdhsa_float_denorm_mode_32 3
		.amdhsa_float_denorm_mode_16_64 3
		.amdhsa_dx10_clamp 1
		.amdhsa_ieee_mode 1
		.amdhsa_fp16_overflow 0
		.amdhsa_tg_split 0
		.amdhsa_exception_fp_ieee_invalid_op 0
		.amdhsa_exception_fp_denorm_src 0
		.amdhsa_exception_fp_ieee_div_zero 0
		.amdhsa_exception_fp_ieee_overflow 0
		.amdhsa_exception_fp_ieee_underflow 0
		.amdhsa_exception_fp_ieee_inexact 0
		.amdhsa_exception_int_div_zero 0
	.end_amdhsa_kernel
	.section	.text._Z17wvSplitKQ_hf_sml_I14__hip_bfloat16N3c1013Float8_e4m3fnELi64ELi2ELi16ELi16ELi2ELi2EEviiiPKT0_S5_PT_PKfS9_ii,"axG",@progbits,_Z17wvSplitKQ_hf_sml_I14__hip_bfloat16N3c1013Float8_e4m3fnELi64ELi2ELi16ELi16ELi2ELi2EEviiiPKT0_S5_PT_PKfS9_ii,comdat
.Lfunc_end52:
	.size	_Z17wvSplitKQ_hf_sml_I14__hip_bfloat16N3c1013Float8_e4m3fnELi64ELi2ELi16ELi16ELi2ELi2EEviiiPKT0_S5_PT_PKfS9_ii, .Lfunc_end52-_Z17wvSplitKQ_hf_sml_I14__hip_bfloat16N3c1013Float8_e4m3fnELi64ELi2ELi16ELi16ELi2ELi2EEviiiPKT0_S5_PT_PKfS9_ii
                                        ; -- End function
	.section	.AMDGPU.csdata,"",@progbits
; Kernel info:
; codeLenInByte = 88
; NumSgprs: 40
; NumVgprs: 49
; NumAgprs: 0
; TotalNumVgprs: 49
; ScratchSize: 64
; MemoryBound: 0
; FloatMode: 240
; IeeeMode: 1
; LDSByteSize: 0 bytes/workgroup (compile time only)
; SGPRBlocks: 4
; VGPRBlocks: 6
; NumSGPRsForWavesPerEU: 40
; NumVGPRsForWavesPerEU: 49
; AccumOffset: 52
; Occupancy: 8
; WaveLimiterHint : 1
; COMPUTE_PGM_RSRC2:SCRATCH_EN: 1
; COMPUTE_PGM_RSRC2:USER_SGPR: 8
; COMPUTE_PGM_RSRC2:TRAP_HANDLER: 0
; COMPUTE_PGM_RSRC2:TGID_X_EN: 1
; COMPUTE_PGM_RSRC2:TGID_Y_EN: 0
; COMPUTE_PGM_RSRC2:TGID_Z_EN: 0
; COMPUTE_PGM_RSRC2:TIDIG_COMP_CNT: 0
; COMPUTE_PGM_RSRC3_GFX90A:ACCUM_OFFSET: 12
; COMPUTE_PGM_RSRC3_GFX90A:TG_SPLIT: 0
	.section	.text._Z13wvSplitKQ_hf_I14__hip_bfloat16N3c1013Float8_e4m3fnELi64ELi2ELi16ELi16ELi2ELi2EEviiiPKT0_S5_PT_PKfS9_ii,"axG",@progbits,_Z13wvSplitKQ_hf_I14__hip_bfloat16N3c1013Float8_e4m3fnELi64ELi2ELi16ELi16ELi2ELi2EEviiiPKT0_S5_PT_PKfS9_ii,comdat
	.protected	_Z13wvSplitKQ_hf_I14__hip_bfloat16N3c1013Float8_e4m3fnELi64ELi2ELi16ELi16ELi2ELi2EEviiiPKT0_S5_PT_PKfS9_ii ; -- Begin function _Z13wvSplitKQ_hf_I14__hip_bfloat16N3c1013Float8_e4m3fnELi64ELi2ELi16ELi16ELi2ELi2EEviiiPKT0_S5_PT_PKfS9_ii
	.globl	_Z13wvSplitKQ_hf_I14__hip_bfloat16N3c1013Float8_e4m3fnELi64ELi2ELi16ELi16ELi2ELi2EEviiiPKT0_S5_PT_PKfS9_ii
	.p2align	8
	.type	_Z13wvSplitKQ_hf_I14__hip_bfloat16N3c1013Float8_e4m3fnELi64ELi2ELi16ELi16ELi2ELi2EEviiiPKT0_S5_PT_PKfS9_ii,@function
_Z13wvSplitKQ_hf_I14__hip_bfloat16N3c1013Float8_e4m3fnELi64ELi2ELi16ELi16ELi2ELi2EEviiiPKT0_S5_PT_PKfS9_ii: ; @_Z13wvSplitKQ_hf_I14__hip_bfloat16N3c1013Float8_e4m3fnELi64ELi2ELi16ELi16ELi2ELi2EEviiiPKT0_S5_PT_PKfS9_ii
; %bb.0:
	s_add_u32 flat_scratch_lo, s6, s9
	s_addc_u32 flat_scratch_hi, s7, 0
	s_add_u32 s0, s0, s9
	s_addc_u32 s1, s1, 0
	s_add_u32 s8, s4, 64
	s_addc_u32 s9, s5, 0
	s_getpc_b64 s[4:5]
	s_add_u32 s4, s4, __PRETTY_FUNCTION__._Z13wvSplitKQ_hf_I14__hip_bfloat16N3c1013Float8_e4m3fnELi64ELi2ELi16ELi16ELi2ELi2EEviiiPKT0_S5_PT_PKfS9_ii@rel32@lo+4
	s_addc_u32 s5, s5, __PRETTY_FUNCTION__._Z13wvSplitKQ_hf_I14__hip_bfloat16N3c1013Float8_e4m3fnELi64ELi2ELi16ELi16ELi2ELi2EEviiiPKT0_S5_PT_PKfS9_ii@rel32@hi+12
	v_mov_b32_e32 v0, 0x66e
	v_mov_b32_e32 v1, s4
	;; [unrolled: 1-line block ×3, first 2 shown]
	s_mov_b32 s32, 0
	s_getpc_b64 s[6:7]
	s_add_u32 s6, s6, __assert_fail@rel32@lo+4
	s_addc_u32 s7, s7, __assert_fail@rel32@hi+12
	s_swappc_b64 s[30:31], s[6:7]
	.section	.rodata,"a",@progbits
	.p2align	6, 0x0
	.amdhsa_kernel _Z13wvSplitKQ_hf_I14__hip_bfloat16N3c1013Float8_e4m3fnELi64ELi2ELi16ELi16ELi2ELi2EEviiiPKT0_S5_PT_PKfS9_ii
		.amdhsa_group_segment_fixed_size 0
		.amdhsa_private_segment_fixed_size 64
		.amdhsa_kernarg_size 320
		.amdhsa_user_sgpr_count 8
		.amdhsa_user_sgpr_private_segment_buffer 1
		.amdhsa_user_sgpr_dispatch_ptr 0
		.amdhsa_user_sgpr_queue_ptr 0
		.amdhsa_user_sgpr_kernarg_segment_ptr 1
		.amdhsa_user_sgpr_dispatch_id 0
		.amdhsa_user_sgpr_flat_scratch_init 1
		.amdhsa_user_sgpr_kernarg_preload_length 0
		.amdhsa_user_sgpr_kernarg_preload_offset 0
		.amdhsa_user_sgpr_private_segment_size 0
		.amdhsa_uses_dynamic_stack 0
		.amdhsa_system_sgpr_private_segment_wavefront_offset 1
		.amdhsa_system_sgpr_workgroup_id_x 1
		.amdhsa_system_sgpr_workgroup_id_y 0
		.amdhsa_system_sgpr_workgroup_id_z 0
		.amdhsa_system_sgpr_workgroup_info 0
		.amdhsa_system_vgpr_workitem_id 0
		.amdhsa_next_free_vgpr 49
		.amdhsa_next_free_sgpr 34
		.amdhsa_accum_offset 52
		.amdhsa_reserve_vcc 1
		.amdhsa_reserve_flat_scratch 1
		.amdhsa_float_round_mode_32 0
		.amdhsa_float_round_mode_16_64 0
		.amdhsa_float_denorm_mode_32 3
		.amdhsa_float_denorm_mode_16_64 3
		.amdhsa_dx10_clamp 1
		.amdhsa_ieee_mode 1
		.amdhsa_fp16_overflow 0
		.amdhsa_tg_split 0
		.amdhsa_exception_fp_ieee_invalid_op 0
		.amdhsa_exception_fp_denorm_src 0
		.amdhsa_exception_fp_ieee_div_zero 0
		.amdhsa_exception_fp_ieee_overflow 0
		.amdhsa_exception_fp_ieee_underflow 0
		.amdhsa_exception_fp_ieee_inexact 0
		.amdhsa_exception_int_div_zero 0
	.end_amdhsa_kernel
	.section	.text._Z13wvSplitKQ_hf_I14__hip_bfloat16N3c1013Float8_e4m3fnELi64ELi2ELi16ELi16ELi2ELi2EEviiiPKT0_S5_PT_PKfS9_ii,"axG",@progbits,_Z13wvSplitKQ_hf_I14__hip_bfloat16N3c1013Float8_e4m3fnELi64ELi2ELi16ELi16ELi2ELi2EEviiiPKT0_S5_PT_PKfS9_ii,comdat
.Lfunc_end53:
	.size	_Z13wvSplitKQ_hf_I14__hip_bfloat16N3c1013Float8_e4m3fnELi64ELi2ELi16ELi16ELi2ELi2EEviiiPKT0_S5_PT_PKfS9_ii, .Lfunc_end53-_Z13wvSplitKQ_hf_I14__hip_bfloat16N3c1013Float8_e4m3fnELi64ELi2ELi16ELi16ELi2ELi2EEviiiPKT0_S5_PT_PKfS9_ii
                                        ; -- End function
	.section	.AMDGPU.csdata,"",@progbits
; Kernel info:
; codeLenInByte = 88
; NumSgprs: 40
; NumVgprs: 49
; NumAgprs: 0
; TotalNumVgprs: 49
; ScratchSize: 64
; MemoryBound: 0
; FloatMode: 240
; IeeeMode: 1
; LDSByteSize: 0 bytes/workgroup (compile time only)
; SGPRBlocks: 4
; VGPRBlocks: 6
; NumSGPRsForWavesPerEU: 40
; NumVGPRsForWavesPerEU: 49
; AccumOffset: 52
; Occupancy: 8
; WaveLimiterHint : 1
; COMPUTE_PGM_RSRC2:SCRATCH_EN: 1
; COMPUTE_PGM_RSRC2:USER_SGPR: 8
; COMPUTE_PGM_RSRC2:TRAP_HANDLER: 0
; COMPUTE_PGM_RSRC2:TGID_X_EN: 1
; COMPUTE_PGM_RSRC2:TGID_Y_EN: 0
; COMPUTE_PGM_RSRC2:TGID_Z_EN: 0
; COMPUTE_PGM_RSRC2:TIDIG_COMP_CNT: 0
; COMPUTE_PGM_RSRC3_GFX90A:ACCUM_OFFSET: 12
; COMPUTE_PGM_RSRC3_GFX90A:TG_SPLIT: 0
	.section	.text._Z17wvSplitKQ_hf_sml_I14__hip_bfloat16N3c1013Float8_e4m3fnELi64ELi4ELi16ELi16ELi1ELi3EEviiiPKT0_S5_PT_PKfS9_ii,"axG",@progbits,_Z17wvSplitKQ_hf_sml_I14__hip_bfloat16N3c1013Float8_e4m3fnELi64ELi4ELi16ELi16ELi1ELi3EEviiiPKT0_S5_PT_PKfS9_ii,comdat
	.protected	_Z17wvSplitKQ_hf_sml_I14__hip_bfloat16N3c1013Float8_e4m3fnELi64ELi4ELi16ELi16ELi1ELi3EEviiiPKT0_S5_PT_PKfS9_ii ; -- Begin function _Z17wvSplitKQ_hf_sml_I14__hip_bfloat16N3c1013Float8_e4m3fnELi64ELi4ELi16ELi16ELi1ELi3EEviiiPKT0_S5_PT_PKfS9_ii
	.globl	_Z17wvSplitKQ_hf_sml_I14__hip_bfloat16N3c1013Float8_e4m3fnELi64ELi4ELi16ELi16ELi1ELi3EEviiiPKT0_S5_PT_PKfS9_ii
	.p2align	8
	.type	_Z17wvSplitKQ_hf_sml_I14__hip_bfloat16N3c1013Float8_e4m3fnELi64ELi4ELi16ELi16ELi1ELi3EEviiiPKT0_S5_PT_PKfS9_ii,@function
_Z17wvSplitKQ_hf_sml_I14__hip_bfloat16N3c1013Float8_e4m3fnELi64ELi4ELi16ELi16ELi1ELi3EEviiiPKT0_S5_PT_PKfS9_ii: ; @_Z17wvSplitKQ_hf_sml_I14__hip_bfloat16N3c1013Float8_e4m3fnELi64ELi4ELi16ELi16ELi1ELi3EEviiiPKT0_S5_PT_PKfS9_ii
; %bb.0:
	s_add_u32 flat_scratch_lo, s6, s9
	s_addc_u32 flat_scratch_hi, s7, 0
	s_add_u32 s0, s0, s9
	s_addc_u32 s1, s1, 0
	s_add_u32 s8, s4, 64
	s_addc_u32 s9, s5, 0
	s_getpc_b64 s[4:5]
	s_add_u32 s4, s4, __PRETTY_FUNCTION__._Z17wvSplitKQ_hf_sml_I14__hip_bfloat16N3c1013Float8_e4m3fnELi64ELi4ELi16ELi16ELi1ELi3EEviiiPKT0_S5_PT_PKfS9_ii@rel32@lo+4
	s_addc_u32 s5, s5, __PRETTY_FUNCTION__._Z17wvSplitKQ_hf_sml_I14__hip_bfloat16N3c1013Float8_e4m3fnELi64ELi4ELi16ELi16ELi1ELi3EEviiiPKT0_S5_PT_PKfS9_ii@rel32@hi+12
	v_mov_b32_e32 v0, 0x5c1
	v_mov_b32_e32 v1, s4
	;; [unrolled: 1-line block ×3, first 2 shown]
	s_mov_b32 s32, 0
	s_getpc_b64 s[6:7]
	s_add_u32 s6, s6, __assert_fail@rel32@lo+4
	s_addc_u32 s7, s7, __assert_fail@rel32@hi+12
	s_swappc_b64 s[30:31], s[6:7]
	.section	.rodata,"a",@progbits
	.p2align	6, 0x0
	.amdhsa_kernel _Z17wvSplitKQ_hf_sml_I14__hip_bfloat16N3c1013Float8_e4m3fnELi64ELi4ELi16ELi16ELi1ELi3EEviiiPKT0_S5_PT_PKfS9_ii
		.amdhsa_group_segment_fixed_size 0
		.amdhsa_private_segment_fixed_size 64
		.amdhsa_kernarg_size 320
		.amdhsa_user_sgpr_count 8
		.amdhsa_user_sgpr_private_segment_buffer 1
		.amdhsa_user_sgpr_dispatch_ptr 0
		.amdhsa_user_sgpr_queue_ptr 0
		.amdhsa_user_sgpr_kernarg_segment_ptr 1
		.amdhsa_user_sgpr_dispatch_id 0
		.amdhsa_user_sgpr_flat_scratch_init 1
		.amdhsa_user_sgpr_kernarg_preload_length 0
		.amdhsa_user_sgpr_kernarg_preload_offset 0
		.amdhsa_user_sgpr_private_segment_size 0
		.amdhsa_uses_dynamic_stack 0
		.amdhsa_system_sgpr_private_segment_wavefront_offset 1
		.amdhsa_system_sgpr_workgroup_id_x 1
		.amdhsa_system_sgpr_workgroup_id_y 0
		.amdhsa_system_sgpr_workgroup_id_z 0
		.amdhsa_system_sgpr_workgroup_info 0
		.amdhsa_system_vgpr_workitem_id 0
		.amdhsa_next_free_vgpr 49
		.amdhsa_next_free_sgpr 34
		.amdhsa_accum_offset 52
		.amdhsa_reserve_vcc 1
		.amdhsa_reserve_flat_scratch 1
		.amdhsa_float_round_mode_32 0
		.amdhsa_float_round_mode_16_64 0
		.amdhsa_float_denorm_mode_32 3
		.amdhsa_float_denorm_mode_16_64 3
		.amdhsa_dx10_clamp 1
		.amdhsa_ieee_mode 1
		.amdhsa_fp16_overflow 0
		.amdhsa_tg_split 0
		.amdhsa_exception_fp_ieee_invalid_op 0
		.amdhsa_exception_fp_denorm_src 0
		.amdhsa_exception_fp_ieee_div_zero 0
		.amdhsa_exception_fp_ieee_overflow 0
		.amdhsa_exception_fp_ieee_underflow 0
		.amdhsa_exception_fp_ieee_inexact 0
		.amdhsa_exception_int_div_zero 0
	.end_amdhsa_kernel
	.section	.text._Z17wvSplitKQ_hf_sml_I14__hip_bfloat16N3c1013Float8_e4m3fnELi64ELi4ELi16ELi16ELi1ELi3EEviiiPKT0_S5_PT_PKfS9_ii,"axG",@progbits,_Z17wvSplitKQ_hf_sml_I14__hip_bfloat16N3c1013Float8_e4m3fnELi64ELi4ELi16ELi16ELi1ELi3EEviiiPKT0_S5_PT_PKfS9_ii,comdat
.Lfunc_end54:
	.size	_Z17wvSplitKQ_hf_sml_I14__hip_bfloat16N3c1013Float8_e4m3fnELi64ELi4ELi16ELi16ELi1ELi3EEviiiPKT0_S5_PT_PKfS9_ii, .Lfunc_end54-_Z17wvSplitKQ_hf_sml_I14__hip_bfloat16N3c1013Float8_e4m3fnELi64ELi4ELi16ELi16ELi1ELi3EEviiiPKT0_S5_PT_PKfS9_ii
                                        ; -- End function
	.section	.AMDGPU.csdata,"",@progbits
; Kernel info:
; codeLenInByte = 88
; NumSgprs: 40
; NumVgprs: 49
; NumAgprs: 0
; TotalNumVgprs: 49
; ScratchSize: 64
; MemoryBound: 0
; FloatMode: 240
; IeeeMode: 1
; LDSByteSize: 0 bytes/workgroup (compile time only)
; SGPRBlocks: 4
; VGPRBlocks: 6
; NumSGPRsForWavesPerEU: 40
; NumVGPRsForWavesPerEU: 49
; AccumOffset: 52
; Occupancy: 8
; WaveLimiterHint : 1
; COMPUTE_PGM_RSRC2:SCRATCH_EN: 1
; COMPUTE_PGM_RSRC2:USER_SGPR: 8
; COMPUTE_PGM_RSRC2:TRAP_HANDLER: 0
; COMPUTE_PGM_RSRC2:TGID_X_EN: 1
; COMPUTE_PGM_RSRC2:TGID_Y_EN: 0
; COMPUTE_PGM_RSRC2:TGID_Z_EN: 0
; COMPUTE_PGM_RSRC2:TIDIG_COMP_CNT: 0
; COMPUTE_PGM_RSRC3_GFX90A:ACCUM_OFFSET: 12
; COMPUTE_PGM_RSRC3_GFX90A:TG_SPLIT: 0
	.section	.text._Z13wvSplitKQ_hf_I14__hip_bfloat16N3c1013Float8_e4m3fnELi64ELi7ELi16ELi16ELi1ELi3EEviiiPKT0_S5_PT_PKfS9_ii,"axG",@progbits,_Z13wvSplitKQ_hf_I14__hip_bfloat16N3c1013Float8_e4m3fnELi64ELi7ELi16ELi16ELi1ELi3EEviiiPKT0_S5_PT_PKfS9_ii,comdat
	.protected	_Z13wvSplitKQ_hf_I14__hip_bfloat16N3c1013Float8_e4m3fnELi64ELi7ELi16ELi16ELi1ELi3EEviiiPKT0_S5_PT_PKfS9_ii ; -- Begin function _Z13wvSplitKQ_hf_I14__hip_bfloat16N3c1013Float8_e4m3fnELi64ELi7ELi16ELi16ELi1ELi3EEviiiPKT0_S5_PT_PKfS9_ii
	.globl	_Z13wvSplitKQ_hf_I14__hip_bfloat16N3c1013Float8_e4m3fnELi64ELi7ELi16ELi16ELi1ELi3EEviiiPKT0_S5_PT_PKfS9_ii
	.p2align	8
	.type	_Z13wvSplitKQ_hf_I14__hip_bfloat16N3c1013Float8_e4m3fnELi64ELi7ELi16ELi16ELi1ELi3EEviiiPKT0_S5_PT_PKfS9_ii,@function
_Z13wvSplitKQ_hf_I14__hip_bfloat16N3c1013Float8_e4m3fnELi64ELi7ELi16ELi16ELi1ELi3EEviiiPKT0_S5_PT_PKfS9_ii: ; @_Z13wvSplitKQ_hf_I14__hip_bfloat16N3c1013Float8_e4m3fnELi64ELi7ELi16ELi16ELi1ELi3EEviiiPKT0_S5_PT_PKfS9_ii
; %bb.0:
	s_add_u32 flat_scratch_lo, s6, s9
	s_addc_u32 flat_scratch_hi, s7, 0
	s_add_u32 s0, s0, s9
	s_addc_u32 s1, s1, 0
	s_add_u32 s8, s4, 64
	s_addc_u32 s9, s5, 0
	s_getpc_b64 s[4:5]
	s_add_u32 s4, s4, __PRETTY_FUNCTION__._Z13wvSplitKQ_hf_I14__hip_bfloat16N3c1013Float8_e4m3fnELi64ELi7ELi16ELi16ELi1ELi3EEviiiPKT0_S5_PT_PKfS9_ii@rel32@lo+4
	s_addc_u32 s5, s5, __PRETTY_FUNCTION__._Z13wvSplitKQ_hf_I14__hip_bfloat16N3c1013Float8_e4m3fnELi64ELi7ELi16ELi16ELi1ELi3EEviiiPKT0_S5_PT_PKfS9_ii@rel32@hi+12
	v_mov_b32_e32 v0, 0x66e
	v_mov_b32_e32 v1, s4
	;; [unrolled: 1-line block ×3, first 2 shown]
	s_mov_b32 s32, 0
	s_getpc_b64 s[6:7]
	s_add_u32 s6, s6, __assert_fail@rel32@lo+4
	s_addc_u32 s7, s7, __assert_fail@rel32@hi+12
	s_swappc_b64 s[30:31], s[6:7]
	.section	.rodata,"a",@progbits
	.p2align	6, 0x0
	.amdhsa_kernel _Z13wvSplitKQ_hf_I14__hip_bfloat16N3c1013Float8_e4m3fnELi64ELi7ELi16ELi16ELi1ELi3EEviiiPKT0_S5_PT_PKfS9_ii
		.amdhsa_group_segment_fixed_size 0
		.amdhsa_private_segment_fixed_size 64
		.amdhsa_kernarg_size 320
		.amdhsa_user_sgpr_count 8
		.amdhsa_user_sgpr_private_segment_buffer 1
		.amdhsa_user_sgpr_dispatch_ptr 0
		.amdhsa_user_sgpr_queue_ptr 0
		.amdhsa_user_sgpr_kernarg_segment_ptr 1
		.amdhsa_user_sgpr_dispatch_id 0
		.amdhsa_user_sgpr_flat_scratch_init 1
		.amdhsa_user_sgpr_kernarg_preload_length 0
		.amdhsa_user_sgpr_kernarg_preload_offset 0
		.amdhsa_user_sgpr_private_segment_size 0
		.amdhsa_uses_dynamic_stack 0
		.amdhsa_system_sgpr_private_segment_wavefront_offset 1
		.amdhsa_system_sgpr_workgroup_id_x 1
		.amdhsa_system_sgpr_workgroup_id_y 0
		.amdhsa_system_sgpr_workgroup_id_z 0
		.amdhsa_system_sgpr_workgroup_info 0
		.amdhsa_system_vgpr_workitem_id 0
		.amdhsa_next_free_vgpr 49
		.amdhsa_next_free_sgpr 34
		.amdhsa_accum_offset 52
		.amdhsa_reserve_vcc 1
		.amdhsa_reserve_flat_scratch 1
		.amdhsa_float_round_mode_32 0
		.amdhsa_float_round_mode_16_64 0
		.amdhsa_float_denorm_mode_32 3
		.amdhsa_float_denorm_mode_16_64 3
		.amdhsa_dx10_clamp 1
		.amdhsa_ieee_mode 1
		.amdhsa_fp16_overflow 0
		.amdhsa_tg_split 0
		.amdhsa_exception_fp_ieee_invalid_op 0
		.amdhsa_exception_fp_denorm_src 0
		.amdhsa_exception_fp_ieee_div_zero 0
		.amdhsa_exception_fp_ieee_overflow 0
		.amdhsa_exception_fp_ieee_underflow 0
		.amdhsa_exception_fp_ieee_inexact 0
		.amdhsa_exception_int_div_zero 0
	.end_amdhsa_kernel
	.section	.text._Z13wvSplitKQ_hf_I14__hip_bfloat16N3c1013Float8_e4m3fnELi64ELi7ELi16ELi16ELi1ELi3EEviiiPKT0_S5_PT_PKfS9_ii,"axG",@progbits,_Z13wvSplitKQ_hf_I14__hip_bfloat16N3c1013Float8_e4m3fnELi64ELi7ELi16ELi16ELi1ELi3EEviiiPKT0_S5_PT_PKfS9_ii,comdat
.Lfunc_end55:
	.size	_Z13wvSplitKQ_hf_I14__hip_bfloat16N3c1013Float8_e4m3fnELi64ELi7ELi16ELi16ELi1ELi3EEviiiPKT0_S5_PT_PKfS9_ii, .Lfunc_end55-_Z13wvSplitKQ_hf_I14__hip_bfloat16N3c1013Float8_e4m3fnELi64ELi7ELi16ELi16ELi1ELi3EEviiiPKT0_S5_PT_PKfS9_ii
                                        ; -- End function
	.section	.AMDGPU.csdata,"",@progbits
; Kernel info:
; codeLenInByte = 88
; NumSgprs: 40
; NumVgprs: 49
; NumAgprs: 0
; TotalNumVgprs: 49
; ScratchSize: 64
; MemoryBound: 0
; FloatMode: 240
; IeeeMode: 1
; LDSByteSize: 0 bytes/workgroup (compile time only)
; SGPRBlocks: 4
; VGPRBlocks: 6
; NumSGPRsForWavesPerEU: 40
; NumVGPRsForWavesPerEU: 49
; AccumOffset: 52
; Occupancy: 8
; WaveLimiterHint : 1
; COMPUTE_PGM_RSRC2:SCRATCH_EN: 1
; COMPUTE_PGM_RSRC2:USER_SGPR: 8
; COMPUTE_PGM_RSRC2:TRAP_HANDLER: 0
; COMPUTE_PGM_RSRC2:TGID_X_EN: 1
; COMPUTE_PGM_RSRC2:TGID_Y_EN: 0
; COMPUTE_PGM_RSRC2:TGID_Z_EN: 0
; COMPUTE_PGM_RSRC2:TIDIG_COMP_CNT: 0
; COMPUTE_PGM_RSRC3_GFX90A:ACCUM_OFFSET: 12
; COMPUTE_PGM_RSRC3_GFX90A:TG_SPLIT: 0
	.section	.text._Z17wvSplitKQ_hf_sml_I14__hip_bfloat16N3c1013Float8_e4m3fnELi64ELi4ELi16ELi16ELi1ELi4EEviiiPKT0_S5_PT_PKfS9_ii,"axG",@progbits,_Z17wvSplitKQ_hf_sml_I14__hip_bfloat16N3c1013Float8_e4m3fnELi64ELi4ELi16ELi16ELi1ELi4EEviiiPKT0_S5_PT_PKfS9_ii,comdat
	.protected	_Z17wvSplitKQ_hf_sml_I14__hip_bfloat16N3c1013Float8_e4m3fnELi64ELi4ELi16ELi16ELi1ELi4EEviiiPKT0_S5_PT_PKfS9_ii ; -- Begin function _Z17wvSplitKQ_hf_sml_I14__hip_bfloat16N3c1013Float8_e4m3fnELi64ELi4ELi16ELi16ELi1ELi4EEviiiPKT0_S5_PT_PKfS9_ii
	.globl	_Z17wvSplitKQ_hf_sml_I14__hip_bfloat16N3c1013Float8_e4m3fnELi64ELi4ELi16ELi16ELi1ELi4EEviiiPKT0_S5_PT_PKfS9_ii
	.p2align	8
	.type	_Z17wvSplitKQ_hf_sml_I14__hip_bfloat16N3c1013Float8_e4m3fnELi64ELi4ELi16ELi16ELi1ELi4EEviiiPKT0_S5_PT_PKfS9_ii,@function
_Z17wvSplitKQ_hf_sml_I14__hip_bfloat16N3c1013Float8_e4m3fnELi64ELi4ELi16ELi16ELi1ELi4EEviiiPKT0_S5_PT_PKfS9_ii: ; @_Z17wvSplitKQ_hf_sml_I14__hip_bfloat16N3c1013Float8_e4m3fnELi64ELi4ELi16ELi16ELi1ELi4EEviiiPKT0_S5_PT_PKfS9_ii
; %bb.0:
	s_add_u32 flat_scratch_lo, s6, s9
	s_addc_u32 flat_scratch_hi, s7, 0
	s_add_u32 s0, s0, s9
	s_addc_u32 s1, s1, 0
	s_add_u32 s8, s4, 64
	s_addc_u32 s9, s5, 0
	s_getpc_b64 s[4:5]
	s_add_u32 s4, s4, __PRETTY_FUNCTION__._Z17wvSplitKQ_hf_sml_I14__hip_bfloat16N3c1013Float8_e4m3fnELi64ELi4ELi16ELi16ELi1ELi4EEviiiPKT0_S5_PT_PKfS9_ii@rel32@lo+4
	s_addc_u32 s5, s5, __PRETTY_FUNCTION__._Z17wvSplitKQ_hf_sml_I14__hip_bfloat16N3c1013Float8_e4m3fnELi64ELi4ELi16ELi16ELi1ELi4EEviiiPKT0_S5_PT_PKfS9_ii@rel32@hi+12
	v_mov_b32_e32 v0, 0x5c1
	v_mov_b32_e32 v1, s4
	v_mov_b32_e32 v2, s5
	s_mov_b32 s32, 0
	s_getpc_b64 s[6:7]
	s_add_u32 s6, s6, __assert_fail@rel32@lo+4
	s_addc_u32 s7, s7, __assert_fail@rel32@hi+12
	s_swappc_b64 s[30:31], s[6:7]
	.section	.rodata,"a",@progbits
	.p2align	6, 0x0
	.amdhsa_kernel _Z17wvSplitKQ_hf_sml_I14__hip_bfloat16N3c1013Float8_e4m3fnELi64ELi4ELi16ELi16ELi1ELi4EEviiiPKT0_S5_PT_PKfS9_ii
		.amdhsa_group_segment_fixed_size 0
		.amdhsa_private_segment_fixed_size 64
		.amdhsa_kernarg_size 320
		.amdhsa_user_sgpr_count 8
		.amdhsa_user_sgpr_private_segment_buffer 1
		.amdhsa_user_sgpr_dispatch_ptr 0
		.amdhsa_user_sgpr_queue_ptr 0
		.amdhsa_user_sgpr_kernarg_segment_ptr 1
		.amdhsa_user_sgpr_dispatch_id 0
		.amdhsa_user_sgpr_flat_scratch_init 1
		.amdhsa_user_sgpr_kernarg_preload_length 0
		.amdhsa_user_sgpr_kernarg_preload_offset 0
		.amdhsa_user_sgpr_private_segment_size 0
		.amdhsa_uses_dynamic_stack 0
		.amdhsa_system_sgpr_private_segment_wavefront_offset 1
		.amdhsa_system_sgpr_workgroup_id_x 1
		.amdhsa_system_sgpr_workgroup_id_y 0
		.amdhsa_system_sgpr_workgroup_id_z 0
		.amdhsa_system_sgpr_workgroup_info 0
		.amdhsa_system_vgpr_workitem_id 0
		.amdhsa_next_free_vgpr 49
		.amdhsa_next_free_sgpr 34
		.amdhsa_accum_offset 52
		.amdhsa_reserve_vcc 1
		.amdhsa_reserve_flat_scratch 1
		.amdhsa_float_round_mode_32 0
		.amdhsa_float_round_mode_16_64 0
		.amdhsa_float_denorm_mode_32 3
		.amdhsa_float_denorm_mode_16_64 3
		.amdhsa_dx10_clamp 1
		.amdhsa_ieee_mode 1
		.amdhsa_fp16_overflow 0
		.amdhsa_tg_split 0
		.amdhsa_exception_fp_ieee_invalid_op 0
		.amdhsa_exception_fp_denorm_src 0
		.amdhsa_exception_fp_ieee_div_zero 0
		.amdhsa_exception_fp_ieee_overflow 0
		.amdhsa_exception_fp_ieee_underflow 0
		.amdhsa_exception_fp_ieee_inexact 0
		.amdhsa_exception_int_div_zero 0
	.end_amdhsa_kernel
	.section	.text._Z17wvSplitKQ_hf_sml_I14__hip_bfloat16N3c1013Float8_e4m3fnELi64ELi4ELi16ELi16ELi1ELi4EEviiiPKT0_S5_PT_PKfS9_ii,"axG",@progbits,_Z17wvSplitKQ_hf_sml_I14__hip_bfloat16N3c1013Float8_e4m3fnELi64ELi4ELi16ELi16ELi1ELi4EEviiiPKT0_S5_PT_PKfS9_ii,comdat
.Lfunc_end56:
	.size	_Z17wvSplitKQ_hf_sml_I14__hip_bfloat16N3c1013Float8_e4m3fnELi64ELi4ELi16ELi16ELi1ELi4EEviiiPKT0_S5_PT_PKfS9_ii, .Lfunc_end56-_Z17wvSplitKQ_hf_sml_I14__hip_bfloat16N3c1013Float8_e4m3fnELi64ELi4ELi16ELi16ELi1ELi4EEviiiPKT0_S5_PT_PKfS9_ii
                                        ; -- End function
	.section	.AMDGPU.csdata,"",@progbits
; Kernel info:
; codeLenInByte = 88
; NumSgprs: 40
; NumVgprs: 49
; NumAgprs: 0
; TotalNumVgprs: 49
; ScratchSize: 64
; MemoryBound: 0
; FloatMode: 240
; IeeeMode: 1
; LDSByteSize: 0 bytes/workgroup (compile time only)
; SGPRBlocks: 4
; VGPRBlocks: 6
; NumSGPRsForWavesPerEU: 40
; NumVGPRsForWavesPerEU: 49
; AccumOffset: 52
; Occupancy: 8
; WaveLimiterHint : 1
; COMPUTE_PGM_RSRC2:SCRATCH_EN: 1
; COMPUTE_PGM_RSRC2:USER_SGPR: 8
; COMPUTE_PGM_RSRC2:TRAP_HANDLER: 0
; COMPUTE_PGM_RSRC2:TGID_X_EN: 1
; COMPUTE_PGM_RSRC2:TGID_Y_EN: 0
; COMPUTE_PGM_RSRC2:TGID_Z_EN: 0
; COMPUTE_PGM_RSRC2:TIDIG_COMP_CNT: 0
; COMPUTE_PGM_RSRC3_GFX90A:ACCUM_OFFSET: 12
; COMPUTE_PGM_RSRC3_GFX90A:TG_SPLIT: 0
	.section	.text._Z13wvSplitKQ_hf_I14__hip_bfloat16N3c1013Float8_e4m3fnELi64ELi7ELi16ELi16ELi1ELi4EEviiiPKT0_S5_PT_PKfS9_ii,"axG",@progbits,_Z13wvSplitKQ_hf_I14__hip_bfloat16N3c1013Float8_e4m3fnELi64ELi7ELi16ELi16ELi1ELi4EEviiiPKT0_S5_PT_PKfS9_ii,comdat
	.protected	_Z13wvSplitKQ_hf_I14__hip_bfloat16N3c1013Float8_e4m3fnELi64ELi7ELi16ELi16ELi1ELi4EEviiiPKT0_S5_PT_PKfS9_ii ; -- Begin function _Z13wvSplitKQ_hf_I14__hip_bfloat16N3c1013Float8_e4m3fnELi64ELi7ELi16ELi16ELi1ELi4EEviiiPKT0_S5_PT_PKfS9_ii
	.globl	_Z13wvSplitKQ_hf_I14__hip_bfloat16N3c1013Float8_e4m3fnELi64ELi7ELi16ELi16ELi1ELi4EEviiiPKT0_S5_PT_PKfS9_ii
	.p2align	8
	.type	_Z13wvSplitKQ_hf_I14__hip_bfloat16N3c1013Float8_e4m3fnELi64ELi7ELi16ELi16ELi1ELi4EEviiiPKT0_S5_PT_PKfS9_ii,@function
_Z13wvSplitKQ_hf_I14__hip_bfloat16N3c1013Float8_e4m3fnELi64ELi7ELi16ELi16ELi1ELi4EEviiiPKT0_S5_PT_PKfS9_ii: ; @_Z13wvSplitKQ_hf_I14__hip_bfloat16N3c1013Float8_e4m3fnELi64ELi7ELi16ELi16ELi1ELi4EEviiiPKT0_S5_PT_PKfS9_ii
; %bb.0:
	s_add_u32 flat_scratch_lo, s6, s9
	s_addc_u32 flat_scratch_hi, s7, 0
	s_add_u32 s0, s0, s9
	s_addc_u32 s1, s1, 0
	s_add_u32 s8, s4, 64
	s_addc_u32 s9, s5, 0
	s_getpc_b64 s[4:5]
	s_add_u32 s4, s4, __PRETTY_FUNCTION__._Z13wvSplitKQ_hf_I14__hip_bfloat16N3c1013Float8_e4m3fnELi64ELi7ELi16ELi16ELi1ELi4EEviiiPKT0_S5_PT_PKfS9_ii@rel32@lo+4
	s_addc_u32 s5, s5, __PRETTY_FUNCTION__._Z13wvSplitKQ_hf_I14__hip_bfloat16N3c1013Float8_e4m3fnELi64ELi7ELi16ELi16ELi1ELi4EEviiiPKT0_S5_PT_PKfS9_ii@rel32@hi+12
	v_mov_b32_e32 v0, 0x66e
	v_mov_b32_e32 v1, s4
	;; [unrolled: 1-line block ×3, first 2 shown]
	s_mov_b32 s32, 0
	s_getpc_b64 s[6:7]
	s_add_u32 s6, s6, __assert_fail@rel32@lo+4
	s_addc_u32 s7, s7, __assert_fail@rel32@hi+12
	s_swappc_b64 s[30:31], s[6:7]
	.section	.rodata,"a",@progbits
	.p2align	6, 0x0
	.amdhsa_kernel _Z13wvSplitKQ_hf_I14__hip_bfloat16N3c1013Float8_e4m3fnELi64ELi7ELi16ELi16ELi1ELi4EEviiiPKT0_S5_PT_PKfS9_ii
		.amdhsa_group_segment_fixed_size 0
		.amdhsa_private_segment_fixed_size 64
		.amdhsa_kernarg_size 320
		.amdhsa_user_sgpr_count 8
		.amdhsa_user_sgpr_private_segment_buffer 1
		.amdhsa_user_sgpr_dispatch_ptr 0
		.amdhsa_user_sgpr_queue_ptr 0
		.amdhsa_user_sgpr_kernarg_segment_ptr 1
		.amdhsa_user_sgpr_dispatch_id 0
		.amdhsa_user_sgpr_flat_scratch_init 1
		.amdhsa_user_sgpr_kernarg_preload_length 0
		.amdhsa_user_sgpr_kernarg_preload_offset 0
		.amdhsa_user_sgpr_private_segment_size 0
		.amdhsa_uses_dynamic_stack 0
		.amdhsa_system_sgpr_private_segment_wavefront_offset 1
		.amdhsa_system_sgpr_workgroup_id_x 1
		.amdhsa_system_sgpr_workgroup_id_y 0
		.amdhsa_system_sgpr_workgroup_id_z 0
		.amdhsa_system_sgpr_workgroup_info 0
		.amdhsa_system_vgpr_workitem_id 0
		.amdhsa_next_free_vgpr 49
		.amdhsa_next_free_sgpr 34
		.amdhsa_accum_offset 52
		.amdhsa_reserve_vcc 1
		.amdhsa_reserve_flat_scratch 1
		.amdhsa_float_round_mode_32 0
		.amdhsa_float_round_mode_16_64 0
		.amdhsa_float_denorm_mode_32 3
		.amdhsa_float_denorm_mode_16_64 3
		.amdhsa_dx10_clamp 1
		.amdhsa_ieee_mode 1
		.amdhsa_fp16_overflow 0
		.amdhsa_tg_split 0
		.amdhsa_exception_fp_ieee_invalid_op 0
		.amdhsa_exception_fp_denorm_src 0
		.amdhsa_exception_fp_ieee_div_zero 0
		.amdhsa_exception_fp_ieee_overflow 0
		.amdhsa_exception_fp_ieee_underflow 0
		.amdhsa_exception_fp_ieee_inexact 0
		.amdhsa_exception_int_div_zero 0
	.end_amdhsa_kernel
	.section	.text._Z13wvSplitKQ_hf_I14__hip_bfloat16N3c1013Float8_e4m3fnELi64ELi7ELi16ELi16ELi1ELi4EEviiiPKT0_S5_PT_PKfS9_ii,"axG",@progbits,_Z13wvSplitKQ_hf_I14__hip_bfloat16N3c1013Float8_e4m3fnELi64ELi7ELi16ELi16ELi1ELi4EEviiiPKT0_S5_PT_PKfS9_ii,comdat
.Lfunc_end57:
	.size	_Z13wvSplitKQ_hf_I14__hip_bfloat16N3c1013Float8_e4m3fnELi64ELi7ELi16ELi16ELi1ELi4EEviiiPKT0_S5_PT_PKfS9_ii, .Lfunc_end57-_Z13wvSplitKQ_hf_I14__hip_bfloat16N3c1013Float8_e4m3fnELi64ELi7ELi16ELi16ELi1ELi4EEviiiPKT0_S5_PT_PKfS9_ii
                                        ; -- End function
	.section	.AMDGPU.csdata,"",@progbits
; Kernel info:
; codeLenInByte = 88
; NumSgprs: 40
; NumVgprs: 49
; NumAgprs: 0
; TotalNumVgprs: 49
; ScratchSize: 64
; MemoryBound: 0
; FloatMode: 240
; IeeeMode: 1
; LDSByteSize: 0 bytes/workgroup (compile time only)
; SGPRBlocks: 4
; VGPRBlocks: 6
; NumSGPRsForWavesPerEU: 40
; NumVGPRsForWavesPerEU: 49
; AccumOffset: 52
; Occupancy: 8
; WaveLimiterHint : 1
; COMPUTE_PGM_RSRC2:SCRATCH_EN: 1
; COMPUTE_PGM_RSRC2:USER_SGPR: 8
; COMPUTE_PGM_RSRC2:TRAP_HANDLER: 0
; COMPUTE_PGM_RSRC2:TGID_X_EN: 1
; COMPUTE_PGM_RSRC2:TGID_Y_EN: 0
; COMPUTE_PGM_RSRC2:TGID_Z_EN: 0
; COMPUTE_PGM_RSRC2:TIDIG_COMP_CNT: 0
; COMPUTE_PGM_RSRC3_GFX90A:ACCUM_OFFSET: 12
; COMPUTE_PGM_RSRC3_GFX90A:TG_SPLIT: 0
	.section	.text._Z17wvSplitKQ_hf_sml_I14__hip_bfloat16N3c1015Float8_e4m3fnuzELi64ELi2ELi16ELi16ELi2ELi1EEviiiPKT0_S5_PT_PKfS9_ii,"axG",@progbits,_Z17wvSplitKQ_hf_sml_I14__hip_bfloat16N3c1015Float8_e4m3fnuzELi64ELi2ELi16ELi16ELi2ELi1EEviiiPKT0_S5_PT_PKfS9_ii,comdat
	.protected	_Z17wvSplitKQ_hf_sml_I14__hip_bfloat16N3c1015Float8_e4m3fnuzELi64ELi2ELi16ELi16ELi2ELi1EEviiiPKT0_S5_PT_PKfS9_ii ; -- Begin function _Z17wvSplitKQ_hf_sml_I14__hip_bfloat16N3c1015Float8_e4m3fnuzELi64ELi2ELi16ELi16ELi2ELi1EEviiiPKT0_S5_PT_PKfS9_ii
	.globl	_Z17wvSplitKQ_hf_sml_I14__hip_bfloat16N3c1015Float8_e4m3fnuzELi64ELi2ELi16ELi16ELi2ELi1EEviiiPKT0_S5_PT_PKfS9_ii
	.p2align	8
	.type	_Z17wvSplitKQ_hf_sml_I14__hip_bfloat16N3c1015Float8_e4m3fnuzELi64ELi2ELi16ELi16ELi2ELi1EEviiiPKT0_S5_PT_PKfS9_ii,@function
_Z17wvSplitKQ_hf_sml_I14__hip_bfloat16N3c1015Float8_e4m3fnuzELi64ELi2ELi16ELi16ELi2ELi1EEviiiPKT0_S5_PT_PKfS9_ii: ; @_Z17wvSplitKQ_hf_sml_I14__hip_bfloat16N3c1015Float8_e4m3fnuzELi64ELi2ELi16ELi16ELi2ELi1EEviiiPKT0_S5_PT_PKfS9_ii
; %bb.0:
	s_add_u32 flat_scratch_lo, s6, s9
	s_addc_u32 flat_scratch_hi, s7, 0
	s_add_u32 s0, s0, s9
	s_addc_u32 s1, s1, 0
	s_add_u32 s8, s4, 64
	s_addc_u32 s9, s5, 0
	s_getpc_b64 s[4:5]
	s_add_u32 s4, s4, __PRETTY_FUNCTION__._Z17wvSplitKQ_hf_sml_I14__hip_bfloat16N3c1015Float8_e4m3fnuzELi64ELi2ELi16ELi16ELi2ELi1EEviiiPKT0_S5_PT_PKfS9_ii@rel32@lo+4
	s_addc_u32 s5, s5, __PRETTY_FUNCTION__._Z17wvSplitKQ_hf_sml_I14__hip_bfloat16N3c1015Float8_e4m3fnuzELi64ELi2ELi16ELi16ELi2ELi1EEviiiPKT0_S5_PT_PKfS9_ii@rel32@hi+12
	v_mov_b32_e32 v0, 0x5c1
	v_mov_b32_e32 v1, s4
	;; [unrolled: 1-line block ×3, first 2 shown]
	s_mov_b32 s32, 0
	s_getpc_b64 s[6:7]
	s_add_u32 s6, s6, __assert_fail@rel32@lo+4
	s_addc_u32 s7, s7, __assert_fail@rel32@hi+12
	s_swappc_b64 s[30:31], s[6:7]
	.section	.rodata,"a",@progbits
	.p2align	6, 0x0
	.amdhsa_kernel _Z17wvSplitKQ_hf_sml_I14__hip_bfloat16N3c1015Float8_e4m3fnuzELi64ELi2ELi16ELi16ELi2ELi1EEviiiPKT0_S5_PT_PKfS9_ii
		.amdhsa_group_segment_fixed_size 0
		.amdhsa_private_segment_fixed_size 64
		.amdhsa_kernarg_size 320
		.amdhsa_user_sgpr_count 8
		.amdhsa_user_sgpr_private_segment_buffer 1
		.amdhsa_user_sgpr_dispatch_ptr 0
		.amdhsa_user_sgpr_queue_ptr 0
		.amdhsa_user_sgpr_kernarg_segment_ptr 1
		.amdhsa_user_sgpr_dispatch_id 0
		.amdhsa_user_sgpr_flat_scratch_init 1
		.amdhsa_user_sgpr_kernarg_preload_length 0
		.amdhsa_user_sgpr_kernarg_preload_offset 0
		.amdhsa_user_sgpr_private_segment_size 0
		.amdhsa_uses_dynamic_stack 0
		.amdhsa_system_sgpr_private_segment_wavefront_offset 1
		.amdhsa_system_sgpr_workgroup_id_x 1
		.amdhsa_system_sgpr_workgroup_id_y 0
		.amdhsa_system_sgpr_workgroup_id_z 0
		.amdhsa_system_sgpr_workgroup_info 0
		.amdhsa_system_vgpr_workitem_id 0
		.amdhsa_next_free_vgpr 49
		.amdhsa_next_free_sgpr 34
		.amdhsa_accum_offset 52
		.amdhsa_reserve_vcc 1
		.amdhsa_reserve_flat_scratch 1
		.amdhsa_float_round_mode_32 0
		.amdhsa_float_round_mode_16_64 0
		.amdhsa_float_denorm_mode_32 3
		.amdhsa_float_denorm_mode_16_64 3
		.amdhsa_dx10_clamp 1
		.amdhsa_ieee_mode 1
		.amdhsa_fp16_overflow 0
		.amdhsa_tg_split 0
		.amdhsa_exception_fp_ieee_invalid_op 0
		.amdhsa_exception_fp_denorm_src 0
		.amdhsa_exception_fp_ieee_div_zero 0
		.amdhsa_exception_fp_ieee_overflow 0
		.amdhsa_exception_fp_ieee_underflow 0
		.amdhsa_exception_fp_ieee_inexact 0
		.amdhsa_exception_int_div_zero 0
	.end_amdhsa_kernel
	.section	.text._Z17wvSplitKQ_hf_sml_I14__hip_bfloat16N3c1015Float8_e4m3fnuzELi64ELi2ELi16ELi16ELi2ELi1EEviiiPKT0_S5_PT_PKfS9_ii,"axG",@progbits,_Z17wvSplitKQ_hf_sml_I14__hip_bfloat16N3c1015Float8_e4m3fnuzELi64ELi2ELi16ELi16ELi2ELi1EEviiiPKT0_S5_PT_PKfS9_ii,comdat
.Lfunc_end58:
	.size	_Z17wvSplitKQ_hf_sml_I14__hip_bfloat16N3c1015Float8_e4m3fnuzELi64ELi2ELi16ELi16ELi2ELi1EEviiiPKT0_S5_PT_PKfS9_ii, .Lfunc_end58-_Z17wvSplitKQ_hf_sml_I14__hip_bfloat16N3c1015Float8_e4m3fnuzELi64ELi2ELi16ELi16ELi2ELi1EEviiiPKT0_S5_PT_PKfS9_ii
                                        ; -- End function
	.section	.AMDGPU.csdata,"",@progbits
; Kernel info:
; codeLenInByte = 88
; NumSgprs: 40
; NumVgprs: 49
; NumAgprs: 0
; TotalNumVgprs: 49
; ScratchSize: 64
; MemoryBound: 0
; FloatMode: 240
; IeeeMode: 1
; LDSByteSize: 0 bytes/workgroup (compile time only)
; SGPRBlocks: 4
; VGPRBlocks: 6
; NumSGPRsForWavesPerEU: 40
; NumVGPRsForWavesPerEU: 49
; AccumOffset: 52
; Occupancy: 8
; WaveLimiterHint : 1
; COMPUTE_PGM_RSRC2:SCRATCH_EN: 1
; COMPUTE_PGM_RSRC2:USER_SGPR: 8
; COMPUTE_PGM_RSRC2:TRAP_HANDLER: 0
; COMPUTE_PGM_RSRC2:TGID_X_EN: 1
; COMPUTE_PGM_RSRC2:TGID_Y_EN: 0
; COMPUTE_PGM_RSRC2:TGID_Z_EN: 0
; COMPUTE_PGM_RSRC2:TIDIG_COMP_CNT: 0
; COMPUTE_PGM_RSRC3_GFX90A:ACCUM_OFFSET: 12
; COMPUTE_PGM_RSRC3_GFX90A:TG_SPLIT: 0
	.section	.text._Z13wvSplitKQ_hf_I14__hip_bfloat16N3c1015Float8_e4m3fnuzELi64ELi2ELi16ELi16ELi2ELi1EEviiiPKT0_S5_PT_PKfS9_ii,"axG",@progbits,_Z13wvSplitKQ_hf_I14__hip_bfloat16N3c1015Float8_e4m3fnuzELi64ELi2ELi16ELi16ELi2ELi1EEviiiPKT0_S5_PT_PKfS9_ii,comdat
	.protected	_Z13wvSplitKQ_hf_I14__hip_bfloat16N3c1015Float8_e4m3fnuzELi64ELi2ELi16ELi16ELi2ELi1EEviiiPKT0_S5_PT_PKfS9_ii ; -- Begin function _Z13wvSplitKQ_hf_I14__hip_bfloat16N3c1015Float8_e4m3fnuzELi64ELi2ELi16ELi16ELi2ELi1EEviiiPKT0_S5_PT_PKfS9_ii
	.globl	_Z13wvSplitKQ_hf_I14__hip_bfloat16N3c1015Float8_e4m3fnuzELi64ELi2ELi16ELi16ELi2ELi1EEviiiPKT0_S5_PT_PKfS9_ii
	.p2align	8
	.type	_Z13wvSplitKQ_hf_I14__hip_bfloat16N3c1015Float8_e4m3fnuzELi64ELi2ELi16ELi16ELi2ELi1EEviiiPKT0_S5_PT_PKfS9_ii,@function
_Z13wvSplitKQ_hf_I14__hip_bfloat16N3c1015Float8_e4m3fnuzELi64ELi2ELi16ELi16ELi2ELi1EEviiiPKT0_S5_PT_PKfS9_ii: ; @_Z13wvSplitKQ_hf_I14__hip_bfloat16N3c1015Float8_e4m3fnuzELi64ELi2ELi16ELi16ELi2ELi1EEviiiPKT0_S5_PT_PKfS9_ii
; %bb.0:
	s_add_u32 flat_scratch_lo, s6, s9
	s_addc_u32 flat_scratch_hi, s7, 0
	s_add_u32 s0, s0, s9
	s_addc_u32 s1, s1, 0
	s_add_u32 s8, s4, 64
	s_addc_u32 s9, s5, 0
	s_getpc_b64 s[4:5]
	s_add_u32 s4, s4, __PRETTY_FUNCTION__._Z13wvSplitKQ_hf_I14__hip_bfloat16N3c1015Float8_e4m3fnuzELi64ELi2ELi16ELi16ELi2ELi1EEviiiPKT0_S5_PT_PKfS9_ii@rel32@lo+4
	s_addc_u32 s5, s5, __PRETTY_FUNCTION__._Z13wvSplitKQ_hf_I14__hip_bfloat16N3c1015Float8_e4m3fnuzELi64ELi2ELi16ELi16ELi2ELi1EEviiiPKT0_S5_PT_PKfS9_ii@rel32@hi+12
	v_mov_b32_e32 v0, 0x66e
	v_mov_b32_e32 v1, s4
	;; [unrolled: 1-line block ×3, first 2 shown]
	s_mov_b32 s32, 0
	s_getpc_b64 s[6:7]
	s_add_u32 s6, s6, __assert_fail@rel32@lo+4
	s_addc_u32 s7, s7, __assert_fail@rel32@hi+12
	s_swappc_b64 s[30:31], s[6:7]
	.section	.rodata,"a",@progbits
	.p2align	6, 0x0
	.amdhsa_kernel _Z13wvSplitKQ_hf_I14__hip_bfloat16N3c1015Float8_e4m3fnuzELi64ELi2ELi16ELi16ELi2ELi1EEviiiPKT0_S5_PT_PKfS9_ii
		.amdhsa_group_segment_fixed_size 0
		.amdhsa_private_segment_fixed_size 64
		.amdhsa_kernarg_size 320
		.amdhsa_user_sgpr_count 8
		.amdhsa_user_sgpr_private_segment_buffer 1
		.amdhsa_user_sgpr_dispatch_ptr 0
		.amdhsa_user_sgpr_queue_ptr 0
		.amdhsa_user_sgpr_kernarg_segment_ptr 1
		.amdhsa_user_sgpr_dispatch_id 0
		.amdhsa_user_sgpr_flat_scratch_init 1
		.amdhsa_user_sgpr_kernarg_preload_length 0
		.amdhsa_user_sgpr_kernarg_preload_offset 0
		.amdhsa_user_sgpr_private_segment_size 0
		.amdhsa_uses_dynamic_stack 0
		.amdhsa_system_sgpr_private_segment_wavefront_offset 1
		.amdhsa_system_sgpr_workgroup_id_x 1
		.amdhsa_system_sgpr_workgroup_id_y 0
		.amdhsa_system_sgpr_workgroup_id_z 0
		.amdhsa_system_sgpr_workgroup_info 0
		.amdhsa_system_vgpr_workitem_id 0
		.amdhsa_next_free_vgpr 49
		.amdhsa_next_free_sgpr 34
		.amdhsa_accum_offset 52
		.amdhsa_reserve_vcc 1
		.amdhsa_reserve_flat_scratch 1
		.amdhsa_float_round_mode_32 0
		.amdhsa_float_round_mode_16_64 0
		.amdhsa_float_denorm_mode_32 3
		.amdhsa_float_denorm_mode_16_64 3
		.amdhsa_dx10_clamp 1
		.amdhsa_ieee_mode 1
		.amdhsa_fp16_overflow 0
		.amdhsa_tg_split 0
		.amdhsa_exception_fp_ieee_invalid_op 0
		.amdhsa_exception_fp_denorm_src 0
		.amdhsa_exception_fp_ieee_div_zero 0
		.amdhsa_exception_fp_ieee_overflow 0
		.amdhsa_exception_fp_ieee_underflow 0
		.amdhsa_exception_fp_ieee_inexact 0
		.amdhsa_exception_int_div_zero 0
	.end_amdhsa_kernel
	.section	.text._Z13wvSplitKQ_hf_I14__hip_bfloat16N3c1015Float8_e4m3fnuzELi64ELi2ELi16ELi16ELi2ELi1EEviiiPKT0_S5_PT_PKfS9_ii,"axG",@progbits,_Z13wvSplitKQ_hf_I14__hip_bfloat16N3c1015Float8_e4m3fnuzELi64ELi2ELi16ELi16ELi2ELi1EEviiiPKT0_S5_PT_PKfS9_ii,comdat
.Lfunc_end59:
	.size	_Z13wvSplitKQ_hf_I14__hip_bfloat16N3c1015Float8_e4m3fnuzELi64ELi2ELi16ELi16ELi2ELi1EEviiiPKT0_S5_PT_PKfS9_ii, .Lfunc_end59-_Z13wvSplitKQ_hf_I14__hip_bfloat16N3c1015Float8_e4m3fnuzELi64ELi2ELi16ELi16ELi2ELi1EEviiiPKT0_S5_PT_PKfS9_ii
                                        ; -- End function
	.section	.AMDGPU.csdata,"",@progbits
; Kernel info:
; codeLenInByte = 88
; NumSgprs: 40
; NumVgprs: 49
; NumAgprs: 0
; TotalNumVgprs: 49
; ScratchSize: 64
; MemoryBound: 0
; FloatMode: 240
; IeeeMode: 1
; LDSByteSize: 0 bytes/workgroup (compile time only)
; SGPRBlocks: 4
; VGPRBlocks: 6
; NumSGPRsForWavesPerEU: 40
; NumVGPRsForWavesPerEU: 49
; AccumOffset: 52
; Occupancy: 8
; WaveLimiterHint : 1
; COMPUTE_PGM_RSRC2:SCRATCH_EN: 1
; COMPUTE_PGM_RSRC2:USER_SGPR: 8
; COMPUTE_PGM_RSRC2:TRAP_HANDLER: 0
; COMPUTE_PGM_RSRC2:TGID_X_EN: 1
; COMPUTE_PGM_RSRC2:TGID_Y_EN: 0
; COMPUTE_PGM_RSRC2:TGID_Z_EN: 0
; COMPUTE_PGM_RSRC2:TIDIG_COMP_CNT: 0
; COMPUTE_PGM_RSRC3_GFX90A:ACCUM_OFFSET: 12
; COMPUTE_PGM_RSRC3_GFX90A:TG_SPLIT: 0
	.section	.text._Z17wvSplitKQ_hf_sml_I14__hip_bfloat16N3c1015Float8_e4m3fnuzELi64ELi2ELi16ELi16ELi2ELi2EEviiiPKT0_S5_PT_PKfS9_ii,"axG",@progbits,_Z17wvSplitKQ_hf_sml_I14__hip_bfloat16N3c1015Float8_e4m3fnuzELi64ELi2ELi16ELi16ELi2ELi2EEviiiPKT0_S5_PT_PKfS9_ii,comdat
	.protected	_Z17wvSplitKQ_hf_sml_I14__hip_bfloat16N3c1015Float8_e4m3fnuzELi64ELi2ELi16ELi16ELi2ELi2EEviiiPKT0_S5_PT_PKfS9_ii ; -- Begin function _Z17wvSplitKQ_hf_sml_I14__hip_bfloat16N3c1015Float8_e4m3fnuzELi64ELi2ELi16ELi16ELi2ELi2EEviiiPKT0_S5_PT_PKfS9_ii
	.globl	_Z17wvSplitKQ_hf_sml_I14__hip_bfloat16N3c1015Float8_e4m3fnuzELi64ELi2ELi16ELi16ELi2ELi2EEviiiPKT0_S5_PT_PKfS9_ii
	.p2align	8
	.type	_Z17wvSplitKQ_hf_sml_I14__hip_bfloat16N3c1015Float8_e4m3fnuzELi64ELi2ELi16ELi16ELi2ELi2EEviiiPKT0_S5_PT_PKfS9_ii,@function
_Z17wvSplitKQ_hf_sml_I14__hip_bfloat16N3c1015Float8_e4m3fnuzELi64ELi2ELi16ELi16ELi2ELi2EEviiiPKT0_S5_PT_PKfS9_ii: ; @_Z17wvSplitKQ_hf_sml_I14__hip_bfloat16N3c1015Float8_e4m3fnuzELi64ELi2ELi16ELi16ELi2ELi2EEviiiPKT0_S5_PT_PKfS9_ii
; %bb.0:
	s_add_u32 flat_scratch_lo, s6, s9
	s_addc_u32 flat_scratch_hi, s7, 0
	s_add_u32 s0, s0, s9
	s_addc_u32 s1, s1, 0
	s_add_u32 s8, s4, 64
	s_addc_u32 s9, s5, 0
	s_getpc_b64 s[4:5]
	s_add_u32 s4, s4, __PRETTY_FUNCTION__._Z17wvSplitKQ_hf_sml_I14__hip_bfloat16N3c1015Float8_e4m3fnuzELi64ELi2ELi16ELi16ELi2ELi2EEviiiPKT0_S5_PT_PKfS9_ii@rel32@lo+4
	s_addc_u32 s5, s5, __PRETTY_FUNCTION__._Z17wvSplitKQ_hf_sml_I14__hip_bfloat16N3c1015Float8_e4m3fnuzELi64ELi2ELi16ELi16ELi2ELi2EEviiiPKT0_S5_PT_PKfS9_ii@rel32@hi+12
	v_mov_b32_e32 v0, 0x5c1
	v_mov_b32_e32 v1, s4
	;; [unrolled: 1-line block ×3, first 2 shown]
	s_mov_b32 s32, 0
	s_getpc_b64 s[6:7]
	s_add_u32 s6, s6, __assert_fail@rel32@lo+4
	s_addc_u32 s7, s7, __assert_fail@rel32@hi+12
	s_swappc_b64 s[30:31], s[6:7]
	.section	.rodata,"a",@progbits
	.p2align	6, 0x0
	.amdhsa_kernel _Z17wvSplitKQ_hf_sml_I14__hip_bfloat16N3c1015Float8_e4m3fnuzELi64ELi2ELi16ELi16ELi2ELi2EEviiiPKT0_S5_PT_PKfS9_ii
		.amdhsa_group_segment_fixed_size 0
		.amdhsa_private_segment_fixed_size 64
		.amdhsa_kernarg_size 320
		.amdhsa_user_sgpr_count 8
		.amdhsa_user_sgpr_private_segment_buffer 1
		.amdhsa_user_sgpr_dispatch_ptr 0
		.amdhsa_user_sgpr_queue_ptr 0
		.amdhsa_user_sgpr_kernarg_segment_ptr 1
		.amdhsa_user_sgpr_dispatch_id 0
		.amdhsa_user_sgpr_flat_scratch_init 1
		.amdhsa_user_sgpr_kernarg_preload_length 0
		.amdhsa_user_sgpr_kernarg_preload_offset 0
		.amdhsa_user_sgpr_private_segment_size 0
		.amdhsa_uses_dynamic_stack 0
		.amdhsa_system_sgpr_private_segment_wavefront_offset 1
		.amdhsa_system_sgpr_workgroup_id_x 1
		.amdhsa_system_sgpr_workgroup_id_y 0
		.amdhsa_system_sgpr_workgroup_id_z 0
		.amdhsa_system_sgpr_workgroup_info 0
		.amdhsa_system_vgpr_workitem_id 0
		.amdhsa_next_free_vgpr 49
		.amdhsa_next_free_sgpr 34
		.amdhsa_accum_offset 52
		.amdhsa_reserve_vcc 1
		.amdhsa_reserve_flat_scratch 1
		.amdhsa_float_round_mode_32 0
		.amdhsa_float_round_mode_16_64 0
		.amdhsa_float_denorm_mode_32 3
		.amdhsa_float_denorm_mode_16_64 3
		.amdhsa_dx10_clamp 1
		.amdhsa_ieee_mode 1
		.amdhsa_fp16_overflow 0
		.amdhsa_tg_split 0
		.amdhsa_exception_fp_ieee_invalid_op 0
		.amdhsa_exception_fp_denorm_src 0
		.amdhsa_exception_fp_ieee_div_zero 0
		.amdhsa_exception_fp_ieee_overflow 0
		.amdhsa_exception_fp_ieee_underflow 0
		.amdhsa_exception_fp_ieee_inexact 0
		.amdhsa_exception_int_div_zero 0
	.end_amdhsa_kernel
	.section	.text._Z17wvSplitKQ_hf_sml_I14__hip_bfloat16N3c1015Float8_e4m3fnuzELi64ELi2ELi16ELi16ELi2ELi2EEviiiPKT0_S5_PT_PKfS9_ii,"axG",@progbits,_Z17wvSplitKQ_hf_sml_I14__hip_bfloat16N3c1015Float8_e4m3fnuzELi64ELi2ELi16ELi16ELi2ELi2EEviiiPKT0_S5_PT_PKfS9_ii,comdat
.Lfunc_end60:
	.size	_Z17wvSplitKQ_hf_sml_I14__hip_bfloat16N3c1015Float8_e4m3fnuzELi64ELi2ELi16ELi16ELi2ELi2EEviiiPKT0_S5_PT_PKfS9_ii, .Lfunc_end60-_Z17wvSplitKQ_hf_sml_I14__hip_bfloat16N3c1015Float8_e4m3fnuzELi64ELi2ELi16ELi16ELi2ELi2EEviiiPKT0_S5_PT_PKfS9_ii
                                        ; -- End function
	.section	.AMDGPU.csdata,"",@progbits
; Kernel info:
; codeLenInByte = 88
; NumSgprs: 40
; NumVgprs: 49
; NumAgprs: 0
; TotalNumVgprs: 49
; ScratchSize: 64
; MemoryBound: 0
; FloatMode: 240
; IeeeMode: 1
; LDSByteSize: 0 bytes/workgroup (compile time only)
; SGPRBlocks: 4
; VGPRBlocks: 6
; NumSGPRsForWavesPerEU: 40
; NumVGPRsForWavesPerEU: 49
; AccumOffset: 52
; Occupancy: 8
; WaveLimiterHint : 1
; COMPUTE_PGM_RSRC2:SCRATCH_EN: 1
; COMPUTE_PGM_RSRC2:USER_SGPR: 8
; COMPUTE_PGM_RSRC2:TRAP_HANDLER: 0
; COMPUTE_PGM_RSRC2:TGID_X_EN: 1
; COMPUTE_PGM_RSRC2:TGID_Y_EN: 0
; COMPUTE_PGM_RSRC2:TGID_Z_EN: 0
; COMPUTE_PGM_RSRC2:TIDIG_COMP_CNT: 0
; COMPUTE_PGM_RSRC3_GFX90A:ACCUM_OFFSET: 12
; COMPUTE_PGM_RSRC3_GFX90A:TG_SPLIT: 0
	.section	.text._Z13wvSplitKQ_hf_I14__hip_bfloat16N3c1015Float8_e4m3fnuzELi64ELi2ELi16ELi16ELi2ELi2EEviiiPKT0_S5_PT_PKfS9_ii,"axG",@progbits,_Z13wvSplitKQ_hf_I14__hip_bfloat16N3c1015Float8_e4m3fnuzELi64ELi2ELi16ELi16ELi2ELi2EEviiiPKT0_S5_PT_PKfS9_ii,comdat
	.protected	_Z13wvSplitKQ_hf_I14__hip_bfloat16N3c1015Float8_e4m3fnuzELi64ELi2ELi16ELi16ELi2ELi2EEviiiPKT0_S5_PT_PKfS9_ii ; -- Begin function _Z13wvSplitKQ_hf_I14__hip_bfloat16N3c1015Float8_e4m3fnuzELi64ELi2ELi16ELi16ELi2ELi2EEviiiPKT0_S5_PT_PKfS9_ii
	.globl	_Z13wvSplitKQ_hf_I14__hip_bfloat16N3c1015Float8_e4m3fnuzELi64ELi2ELi16ELi16ELi2ELi2EEviiiPKT0_S5_PT_PKfS9_ii
	.p2align	8
	.type	_Z13wvSplitKQ_hf_I14__hip_bfloat16N3c1015Float8_e4m3fnuzELi64ELi2ELi16ELi16ELi2ELi2EEviiiPKT0_S5_PT_PKfS9_ii,@function
_Z13wvSplitKQ_hf_I14__hip_bfloat16N3c1015Float8_e4m3fnuzELi64ELi2ELi16ELi16ELi2ELi2EEviiiPKT0_S5_PT_PKfS9_ii: ; @_Z13wvSplitKQ_hf_I14__hip_bfloat16N3c1015Float8_e4m3fnuzELi64ELi2ELi16ELi16ELi2ELi2EEviiiPKT0_S5_PT_PKfS9_ii
; %bb.0:
	s_add_u32 flat_scratch_lo, s6, s9
	s_addc_u32 flat_scratch_hi, s7, 0
	s_add_u32 s0, s0, s9
	s_addc_u32 s1, s1, 0
	s_add_u32 s8, s4, 64
	s_addc_u32 s9, s5, 0
	s_getpc_b64 s[4:5]
	s_add_u32 s4, s4, __PRETTY_FUNCTION__._Z13wvSplitKQ_hf_I14__hip_bfloat16N3c1015Float8_e4m3fnuzELi64ELi2ELi16ELi16ELi2ELi2EEviiiPKT0_S5_PT_PKfS9_ii@rel32@lo+4
	s_addc_u32 s5, s5, __PRETTY_FUNCTION__._Z13wvSplitKQ_hf_I14__hip_bfloat16N3c1015Float8_e4m3fnuzELi64ELi2ELi16ELi16ELi2ELi2EEviiiPKT0_S5_PT_PKfS9_ii@rel32@hi+12
	v_mov_b32_e32 v0, 0x66e
	v_mov_b32_e32 v1, s4
	;; [unrolled: 1-line block ×3, first 2 shown]
	s_mov_b32 s32, 0
	s_getpc_b64 s[6:7]
	s_add_u32 s6, s6, __assert_fail@rel32@lo+4
	s_addc_u32 s7, s7, __assert_fail@rel32@hi+12
	s_swappc_b64 s[30:31], s[6:7]
	.section	.rodata,"a",@progbits
	.p2align	6, 0x0
	.amdhsa_kernel _Z13wvSplitKQ_hf_I14__hip_bfloat16N3c1015Float8_e4m3fnuzELi64ELi2ELi16ELi16ELi2ELi2EEviiiPKT0_S5_PT_PKfS9_ii
		.amdhsa_group_segment_fixed_size 0
		.amdhsa_private_segment_fixed_size 64
		.amdhsa_kernarg_size 320
		.amdhsa_user_sgpr_count 8
		.amdhsa_user_sgpr_private_segment_buffer 1
		.amdhsa_user_sgpr_dispatch_ptr 0
		.amdhsa_user_sgpr_queue_ptr 0
		.amdhsa_user_sgpr_kernarg_segment_ptr 1
		.amdhsa_user_sgpr_dispatch_id 0
		.amdhsa_user_sgpr_flat_scratch_init 1
		.amdhsa_user_sgpr_kernarg_preload_length 0
		.amdhsa_user_sgpr_kernarg_preload_offset 0
		.amdhsa_user_sgpr_private_segment_size 0
		.amdhsa_uses_dynamic_stack 0
		.amdhsa_system_sgpr_private_segment_wavefront_offset 1
		.amdhsa_system_sgpr_workgroup_id_x 1
		.amdhsa_system_sgpr_workgroup_id_y 0
		.amdhsa_system_sgpr_workgroup_id_z 0
		.amdhsa_system_sgpr_workgroup_info 0
		.amdhsa_system_vgpr_workitem_id 0
		.amdhsa_next_free_vgpr 49
		.amdhsa_next_free_sgpr 34
		.amdhsa_accum_offset 52
		.amdhsa_reserve_vcc 1
		.amdhsa_reserve_flat_scratch 1
		.amdhsa_float_round_mode_32 0
		.amdhsa_float_round_mode_16_64 0
		.amdhsa_float_denorm_mode_32 3
		.amdhsa_float_denorm_mode_16_64 3
		.amdhsa_dx10_clamp 1
		.amdhsa_ieee_mode 1
		.amdhsa_fp16_overflow 0
		.amdhsa_tg_split 0
		.amdhsa_exception_fp_ieee_invalid_op 0
		.amdhsa_exception_fp_denorm_src 0
		.amdhsa_exception_fp_ieee_div_zero 0
		.amdhsa_exception_fp_ieee_overflow 0
		.amdhsa_exception_fp_ieee_underflow 0
		.amdhsa_exception_fp_ieee_inexact 0
		.amdhsa_exception_int_div_zero 0
	.end_amdhsa_kernel
	.section	.text._Z13wvSplitKQ_hf_I14__hip_bfloat16N3c1015Float8_e4m3fnuzELi64ELi2ELi16ELi16ELi2ELi2EEviiiPKT0_S5_PT_PKfS9_ii,"axG",@progbits,_Z13wvSplitKQ_hf_I14__hip_bfloat16N3c1015Float8_e4m3fnuzELi64ELi2ELi16ELi16ELi2ELi2EEviiiPKT0_S5_PT_PKfS9_ii,comdat
.Lfunc_end61:
	.size	_Z13wvSplitKQ_hf_I14__hip_bfloat16N3c1015Float8_e4m3fnuzELi64ELi2ELi16ELi16ELi2ELi2EEviiiPKT0_S5_PT_PKfS9_ii, .Lfunc_end61-_Z13wvSplitKQ_hf_I14__hip_bfloat16N3c1015Float8_e4m3fnuzELi64ELi2ELi16ELi16ELi2ELi2EEviiiPKT0_S5_PT_PKfS9_ii
                                        ; -- End function
	.section	.AMDGPU.csdata,"",@progbits
; Kernel info:
; codeLenInByte = 88
; NumSgprs: 40
; NumVgprs: 49
; NumAgprs: 0
; TotalNumVgprs: 49
; ScratchSize: 64
; MemoryBound: 0
; FloatMode: 240
; IeeeMode: 1
; LDSByteSize: 0 bytes/workgroup (compile time only)
; SGPRBlocks: 4
; VGPRBlocks: 6
; NumSGPRsForWavesPerEU: 40
; NumVGPRsForWavesPerEU: 49
; AccumOffset: 52
; Occupancy: 8
; WaveLimiterHint : 1
; COMPUTE_PGM_RSRC2:SCRATCH_EN: 1
; COMPUTE_PGM_RSRC2:USER_SGPR: 8
; COMPUTE_PGM_RSRC2:TRAP_HANDLER: 0
; COMPUTE_PGM_RSRC2:TGID_X_EN: 1
; COMPUTE_PGM_RSRC2:TGID_Y_EN: 0
; COMPUTE_PGM_RSRC2:TGID_Z_EN: 0
; COMPUTE_PGM_RSRC2:TIDIG_COMP_CNT: 0
; COMPUTE_PGM_RSRC3_GFX90A:ACCUM_OFFSET: 12
; COMPUTE_PGM_RSRC3_GFX90A:TG_SPLIT: 0
	.section	.text._Z17wvSplitKQ_hf_sml_I14__hip_bfloat16N3c1015Float8_e4m3fnuzELi64ELi4ELi16ELi16ELi1ELi3EEviiiPKT0_S5_PT_PKfS9_ii,"axG",@progbits,_Z17wvSplitKQ_hf_sml_I14__hip_bfloat16N3c1015Float8_e4m3fnuzELi64ELi4ELi16ELi16ELi1ELi3EEviiiPKT0_S5_PT_PKfS9_ii,comdat
	.protected	_Z17wvSplitKQ_hf_sml_I14__hip_bfloat16N3c1015Float8_e4m3fnuzELi64ELi4ELi16ELi16ELi1ELi3EEviiiPKT0_S5_PT_PKfS9_ii ; -- Begin function _Z17wvSplitKQ_hf_sml_I14__hip_bfloat16N3c1015Float8_e4m3fnuzELi64ELi4ELi16ELi16ELi1ELi3EEviiiPKT0_S5_PT_PKfS9_ii
	.globl	_Z17wvSplitKQ_hf_sml_I14__hip_bfloat16N3c1015Float8_e4m3fnuzELi64ELi4ELi16ELi16ELi1ELi3EEviiiPKT0_S5_PT_PKfS9_ii
	.p2align	8
	.type	_Z17wvSplitKQ_hf_sml_I14__hip_bfloat16N3c1015Float8_e4m3fnuzELi64ELi4ELi16ELi16ELi1ELi3EEviiiPKT0_S5_PT_PKfS9_ii,@function
_Z17wvSplitKQ_hf_sml_I14__hip_bfloat16N3c1015Float8_e4m3fnuzELi64ELi4ELi16ELi16ELi1ELi3EEviiiPKT0_S5_PT_PKfS9_ii: ; @_Z17wvSplitKQ_hf_sml_I14__hip_bfloat16N3c1015Float8_e4m3fnuzELi64ELi4ELi16ELi16ELi1ELi3EEviiiPKT0_S5_PT_PKfS9_ii
; %bb.0:
	s_add_u32 flat_scratch_lo, s6, s9
	s_addc_u32 flat_scratch_hi, s7, 0
	s_add_u32 s0, s0, s9
	s_addc_u32 s1, s1, 0
	s_add_u32 s8, s4, 64
	s_addc_u32 s9, s5, 0
	s_getpc_b64 s[4:5]
	s_add_u32 s4, s4, __PRETTY_FUNCTION__._Z17wvSplitKQ_hf_sml_I14__hip_bfloat16N3c1015Float8_e4m3fnuzELi64ELi4ELi16ELi16ELi1ELi3EEviiiPKT0_S5_PT_PKfS9_ii@rel32@lo+4
	s_addc_u32 s5, s5, __PRETTY_FUNCTION__._Z17wvSplitKQ_hf_sml_I14__hip_bfloat16N3c1015Float8_e4m3fnuzELi64ELi4ELi16ELi16ELi1ELi3EEviiiPKT0_S5_PT_PKfS9_ii@rel32@hi+12
	v_mov_b32_e32 v0, 0x5c1
	v_mov_b32_e32 v1, s4
	v_mov_b32_e32 v2, s5
	s_mov_b32 s32, 0
	s_getpc_b64 s[6:7]
	s_add_u32 s6, s6, __assert_fail@rel32@lo+4
	s_addc_u32 s7, s7, __assert_fail@rel32@hi+12
	s_swappc_b64 s[30:31], s[6:7]
	.section	.rodata,"a",@progbits
	.p2align	6, 0x0
	.amdhsa_kernel _Z17wvSplitKQ_hf_sml_I14__hip_bfloat16N3c1015Float8_e4m3fnuzELi64ELi4ELi16ELi16ELi1ELi3EEviiiPKT0_S5_PT_PKfS9_ii
		.amdhsa_group_segment_fixed_size 0
		.amdhsa_private_segment_fixed_size 64
		.amdhsa_kernarg_size 320
		.amdhsa_user_sgpr_count 8
		.amdhsa_user_sgpr_private_segment_buffer 1
		.amdhsa_user_sgpr_dispatch_ptr 0
		.amdhsa_user_sgpr_queue_ptr 0
		.amdhsa_user_sgpr_kernarg_segment_ptr 1
		.amdhsa_user_sgpr_dispatch_id 0
		.amdhsa_user_sgpr_flat_scratch_init 1
		.amdhsa_user_sgpr_kernarg_preload_length 0
		.amdhsa_user_sgpr_kernarg_preload_offset 0
		.amdhsa_user_sgpr_private_segment_size 0
		.amdhsa_uses_dynamic_stack 0
		.amdhsa_system_sgpr_private_segment_wavefront_offset 1
		.amdhsa_system_sgpr_workgroup_id_x 1
		.amdhsa_system_sgpr_workgroup_id_y 0
		.amdhsa_system_sgpr_workgroup_id_z 0
		.amdhsa_system_sgpr_workgroup_info 0
		.amdhsa_system_vgpr_workitem_id 0
		.amdhsa_next_free_vgpr 49
		.amdhsa_next_free_sgpr 34
		.amdhsa_accum_offset 52
		.amdhsa_reserve_vcc 1
		.amdhsa_reserve_flat_scratch 1
		.amdhsa_float_round_mode_32 0
		.amdhsa_float_round_mode_16_64 0
		.amdhsa_float_denorm_mode_32 3
		.amdhsa_float_denorm_mode_16_64 3
		.amdhsa_dx10_clamp 1
		.amdhsa_ieee_mode 1
		.amdhsa_fp16_overflow 0
		.amdhsa_tg_split 0
		.amdhsa_exception_fp_ieee_invalid_op 0
		.amdhsa_exception_fp_denorm_src 0
		.amdhsa_exception_fp_ieee_div_zero 0
		.amdhsa_exception_fp_ieee_overflow 0
		.amdhsa_exception_fp_ieee_underflow 0
		.amdhsa_exception_fp_ieee_inexact 0
		.amdhsa_exception_int_div_zero 0
	.end_amdhsa_kernel
	.section	.text._Z17wvSplitKQ_hf_sml_I14__hip_bfloat16N3c1015Float8_e4m3fnuzELi64ELi4ELi16ELi16ELi1ELi3EEviiiPKT0_S5_PT_PKfS9_ii,"axG",@progbits,_Z17wvSplitKQ_hf_sml_I14__hip_bfloat16N3c1015Float8_e4m3fnuzELi64ELi4ELi16ELi16ELi1ELi3EEviiiPKT0_S5_PT_PKfS9_ii,comdat
.Lfunc_end62:
	.size	_Z17wvSplitKQ_hf_sml_I14__hip_bfloat16N3c1015Float8_e4m3fnuzELi64ELi4ELi16ELi16ELi1ELi3EEviiiPKT0_S5_PT_PKfS9_ii, .Lfunc_end62-_Z17wvSplitKQ_hf_sml_I14__hip_bfloat16N3c1015Float8_e4m3fnuzELi64ELi4ELi16ELi16ELi1ELi3EEviiiPKT0_S5_PT_PKfS9_ii
                                        ; -- End function
	.section	.AMDGPU.csdata,"",@progbits
; Kernel info:
; codeLenInByte = 88
; NumSgprs: 40
; NumVgprs: 49
; NumAgprs: 0
; TotalNumVgprs: 49
; ScratchSize: 64
; MemoryBound: 0
; FloatMode: 240
; IeeeMode: 1
; LDSByteSize: 0 bytes/workgroup (compile time only)
; SGPRBlocks: 4
; VGPRBlocks: 6
; NumSGPRsForWavesPerEU: 40
; NumVGPRsForWavesPerEU: 49
; AccumOffset: 52
; Occupancy: 8
; WaveLimiterHint : 1
; COMPUTE_PGM_RSRC2:SCRATCH_EN: 1
; COMPUTE_PGM_RSRC2:USER_SGPR: 8
; COMPUTE_PGM_RSRC2:TRAP_HANDLER: 0
; COMPUTE_PGM_RSRC2:TGID_X_EN: 1
; COMPUTE_PGM_RSRC2:TGID_Y_EN: 0
; COMPUTE_PGM_RSRC2:TGID_Z_EN: 0
; COMPUTE_PGM_RSRC2:TIDIG_COMP_CNT: 0
; COMPUTE_PGM_RSRC3_GFX90A:ACCUM_OFFSET: 12
; COMPUTE_PGM_RSRC3_GFX90A:TG_SPLIT: 0
	.section	.text._Z13wvSplitKQ_hf_I14__hip_bfloat16N3c1015Float8_e4m3fnuzELi64ELi7ELi16ELi16ELi1ELi3EEviiiPKT0_S5_PT_PKfS9_ii,"axG",@progbits,_Z13wvSplitKQ_hf_I14__hip_bfloat16N3c1015Float8_e4m3fnuzELi64ELi7ELi16ELi16ELi1ELi3EEviiiPKT0_S5_PT_PKfS9_ii,comdat
	.protected	_Z13wvSplitKQ_hf_I14__hip_bfloat16N3c1015Float8_e4m3fnuzELi64ELi7ELi16ELi16ELi1ELi3EEviiiPKT0_S5_PT_PKfS9_ii ; -- Begin function _Z13wvSplitKQ_hf_I14__hip_bfloat16N3c1015Float8_e4m3fnuzELi64ELi7ELi16ELi16ELi1ELi3EEviiiPKT0_S5_PT_PKfS9_ii
	.globl	_Z13wvSplitKQ_hf_I14__hip_bfloat16N3c1015Float8_e4m3fnuzELi64ELi7ELi16ELi16ELi1ELi3EEviiiPKT0_S5_PT_PKfS9_ii
	.p2align	8
	.type	_Z13wvSplitKQ_hf_I14__hip_bfloat16N3c1015Float8_e4m3fnuzELi64ELi7ELi16ELi16ELi1ELi3EEviiiPKT0_S5_PT_PKfS9_ii,@function
_Z13wvSplitKQ_hf_I14__hip_bfloat16N3c1015Float8_e4m3fnuzELi64ELi7ELi16ELi16ELi1ELi3EEviiiPKT0_S5_PT_PKfS9_ii: ; @_Z13wvSplitKQ_hf_I14__hip_bfloat16N3c1015Float8_e4m3fnuzELi64ELi7ELi16ELi16ELi1ELi3EEviiiPKT0_S5_PT_PKfS9_ii
; %bb.0:
	s_add_u32 flat_scratch_lo, s6, s9
	s_addc_u32 flat_scratch_hi, s7, 0
	s_add_u32 s0, s0, s9
	s_addc_u32 s1, s1, 0
	s_add_u32 s8, s4, 64
	s_addc_u32 s9, s5, 0
	s_getpc_b64 s[4:5]
	s_add_u32 s4, s4, __PRETTY_FUNCTION__._Z13wvSplitKQ_hf_I14__hip_bfloat16N3c1015Float8_e4m3fnuzELi64ELi7ELi16ELi16ELi1ELi3EEviiiPKT0_S5_PT_PKfS9_ii@rel32@lo+4
	s_addc_u32 s5, s5, __PRETTY_FUNCTION__._Z13wvSplitKQ_hf_I14__hip_bfloat16N3c1015Float8_e4m3fnuzELi64ELi7ELi16ELi16ELi1ELi3EEviiiPKT0_S5_PT_PKfS9_ii@rel32@hi+12
	v_mov_b32_e32 v0, 0x66e
	v_mov_b32_e32 v1, s4
	;; [unrolled: 1-line block ×3, first 2 shown]
	s_mov_b32 s32, 0
	s_getpc_b64 s[6:7]
	s_add_u32 s6, s6, __assert_fail@rel32@lo+4
	s_addc_u32 s7, s7, __assert_fail@rel32@hi+12
	s_swappc_b64 s[30:31], s[6:7]
	.section	.rodata,"a",@progbits
	.p2align	6, 0x0
	.amdhsa_kernel _Z13wvSplitKQ_hf_I14__hip_bfloat16N3c1015Float8_e4m3fnuzELi64ELi7ELi16ELi16ELi1ELi3EEviiiPKT0_S5_PT_PKfS9_ii
		.amdhsa_group_segment_fixed_size 0
		.amdhsa_private_segment_fixed_size 64
		.amdhsa_kernarg_size 320
		.amdhsa_user_sgpr_count 8
		.amdhsa_user_sgpr_private_segment_buffer 1
		.amdhsa_user_sgpr_dispatch_ptr 0
		.amdhsa_user_sgpr_queue_ptr 0
		.amdhsa_user_sgpr_kernarg_segment_ptr 1
		.amdhsa_user_sgpr_dispatch_id 0
		.amdhsa_user_sgpr_flat_scratch_init 1
		.amdhsa_user_sgpr_kernarg_preload_length 0
		.amdhsa_user_sgpr_kernarg_preload_offset 0
		.amdhsa_user_sgpr_private_segment_size 0
		.amdhsa_uses_dynamic_stack 0
		.amdhsa_system_sgpr_private_segment_wavefront_offset 1
		.amdhsa_system_sgpr_workgroup_id_x 1
		.amdhsa_system_sgpr_workgroup_id_y 0
		.amdhsa_system_sgpr_workgroup_id_z 0
		.amdhsa_system_sgpr_workgroup_info 0
		.amdhsa_system_vgpr_workitem_id 0
		.amdhsa_next_free_vgpr 49
		.amdhsa_next_free_sgpr 34
		.amdhsa_accum_offset 52
		.amdhsa_reserve_vcc 1
		.amdhsa_reserve_flat_scratch 1
		.amdhsa_float_round_mode_32 0
		.amdhsa_float_round_mode_16_64 0
		.amdhsa_float_denorm_mode_32 3
		.amdhsa_float_denorm_mode_16_64 3
		.amdhsa_dx10_clamp 1
		.amdhsa_ieee_mode 1
		.amdhsa_fp16_overflow 0
		.amdhsa_tg_split 0
		.amdhsa_exception_fp_ieee_invalid_op 0
		.amdhsa_exception_fp_denorm_src 0
		.amdhsa_exception_fp_ieee_div_zero 0
		.amdhsa_exception_fp_ieee_overflow 0
		.amdhsa_exception_fp_ieee_underflow 0
		.amdhsa_exception_fp_ieee_inexact 0
		.amdhsa_exception_int_div_zero 0
	.end_amdhsa_kernel
	.section	.text._Z13wvSplitKQ_hf_I14__hip_bfloat16N3c1015Float8_e4m3fnuzELi64ELi7ELi16ELi16ELi1ELi3EEviiiPKT0_S5_PT_PKfS9_ii,"axG",@progbits,_Z13wvSplitKQ_hf_I14__hip_bfloat16N3c1015Float8_e4m3fnuzELi64ELi7ELi16ELi16ELi1ELi3EEviiiPKT0_S5_PT_PKfS9_ii,comdat
.Lfunc_end63:
	.size	_Z13wvSplitKQ_hf_I14__hip_bfloat16N3c1015Float8_e4m3fnuzELi64ELi7ELi16ELi16ELi1ELi3EEviiiPKT0_S5_PT_PKfS9_ii, .Lfunc_end63-_Z13wvSplitKQ_hf_I14__hip_bfloat16N3c1015Float8_e4m3fnuzELi64ELi7ELi16ELi16ELi1ELi3EEviiiPKT0_S5_PT_PKfS9_ii
                                        ; -- End function
	.section	.AMDGPU.csdata,"",@progbits
; Kernel info:
; codeLenInByte = 88
; NumSgprs: 40
; NumVgprs: 49
; NumAgprs: 0
; TotalNumVgprs: 49
; ScratchSize: 64
; MemoryBound: 0
; FloatMode: 240
; IeeeMode: 1
; LDSByteSize: 0 bytes/workgroup (compile time only)
; SGPRBlocks: 4
; VGPRBlocks: 6
; NumSGPRsForWavesPerEU: 40
; NumVGPRsForWavesPerEU: 49
; AccumOffset: 52
; Occupancy: 8
; WaveLimiterHint : 1
; COMPUTE_PGM_RSRC2:SCRATCH_EN: 1
; COMPUTE_PGM_RSRC2:USER_SGPR: 8
; COMPUTE_PGM_RSRC2:TRAP_HANDLER: 0
; COMPUTE_PGM_RSRC2:TGID_X_EN: 1
; COMPUTE_PGM_RSRC2:TGID_Y_EN: 0
; COMPUTE_PGM_RSRC2:TGID_Z_EN: 0
; COMPUTE_PGM_RSRC2:TIDIG_COMP_CNT: 0
; COMPUTE_PGM_RSRC3_GFX90A:ACCUM_OFFSET: 12
; COMPUTE_PGM_RSRC3_GFX90A:TG_SPLIT: 0
	.section	.text._Z17wvSplitKQ_hf_sml_I14__hip_bfloat16N3c1015Float8_e4m3fnuzELi64ELi4ELi16ELi16ELi1ELi4EEviiiPKT0_S5_PT_PKfS9_ii,"axG",@progbits,_Z17wvSplitKQ_hf_sml_I14__hip_bfloat16N3c1015Float8_e4m3fnuzELi64ELi4ELi16ELi16ELi1ELi4EEviiiPKT0_S5_PT_PKfS9_ii,comdat
	.protected	_Z17wvSplitKQ_hf_sml_I14__hip_bfloat16N3c1015Float8_e4m3fnuzELi64ELi4ELi16ELi16ELi1ELi4EEviiiPKT0_S5_PT_PKfS9_ii ; -- Begin function _Z17wvSplitKQ_hf_sml_I14__hip_bfloat16N3c1015Float8_e4m3fnuzELi64ELi4ELi16ELi16ELi1ELi4EEviiiPKT0_S5_PT_PKfS9_ii
	.globl	_Z17wvSplitKQ_hf_sml_I14__hip_bfloat16N3c1015Float8_e4m3fnuzELi64ELi4ELi16ELi16ELi1ELi4EEviiiPKT0_S5_PT_PKfS9_ii
	.p2align	8
	.type	_Z17wvSplitKQ_hf_sml_I14__hip_bfloat16N3c1015Float8_e4m3fnuzELi64ELi4ELi16ELi16ELi1ELi4EEviiiPKT0_S5_PT_PKfS9_ii,@function
_Z17wvSplitKQ_hf_sml_I14__hip_bfloat16N3c1015Float8_e4m3fnuzELi64ELi4ELi16ELi16ELi1ELi4EEviiiPKT0_S5_PT_PKfS9_ii: ; @_Z17wvSplitKQ_hf_sml_I14__hip_bfloat16N3c1015Float8_e4m3fnuzELi64ELi4ELi16ELi16ELi1ELi4EEviiiPKT0_S5_PT_PKfS9_ii
; %bb.0:
	s_add_u32 flat_scratch_lo, s6, s9
	s_addc_u32 flat_scratch_hi, s7, 0
	s_add_u32 s0, s0, s9
	s_addc_u32 s1, s1, 0
	s_add_u32 s8, s4, 64
	s_addc_u32 s9, s5, 0
	s_getpc_b64 s[4:5]
	s_add_u32 s4, s4, __PRETTY_FUNCTION__._Z17wvSplitKQ_hf_sml_I14__hip_bfloat16N3c1015Float8_e4m3fnuzELi64ELi4ELi16ELi16ELi1ELi4EEviiiPKT0_S5_PT_PKfS9_ii@rel32@lo+4
	s_addc_u32 s5, s5, __PRETTY_FUNCTION__._Z17wvSplitKQ_hf_sml_I14__hip_bfloat16N3c1015Float8_e4m3fnuzELi64ELi4ELi16ELi16ELi1ELi4EEviiiPKT0_S5_PT_PKfS9_ii@rel32@hi+12
	v_mov_b32_e32 v0, 0x5c1
	v_mov_b32_e32 v1, s4
	;; [unrolled: 1-line block ×3, first 2 shown]
	s_mov_b32 s32, 0
	s_getpc_b64 s[6:7]
	s_add_u32 s6, s6, __assert_fail@rel32@lo+4
	s_addc_u32 s7, s7, __assert_fail@rel32@hi+12
	s_swappc_b64 s[30:31], s[6:7]
	.section	.rodata,"a",@progbits
	.p2align	6, 0x0
	.amdhsa_kernel _Z17wvSplitKQ_hf_sml_I14__hip_bfloat16N3c1015Float8_e4m3fnuzELi64ELi4ELi16ELi16ELi1ELi4EEviiiPKT0_S5_PT_PKfS9_ii
		.amdhsa_group_segment_fixed_size 0
		.amdhsa_private_segment_fixed_size 64
		.amdhsa_kernarg_size 320
		.amdhsa_user_sgpr_count 8
		.amdhsa_user_sgpr_private_segment_buffer 1
		.amdhsa_user_sgpr_dispatch_ptr 0
		.amdhsa_user_sgpr_queue_ptr 0
		.amdhsa_user_sgpr_kernarg_segment_ptr 1
		.amdhsa_user_sgpr_dispatch_id 0
		.amdhsa_user_sgpr_flat_scratch_init 1
		.amdhsa_user_sgpr_kernarg_preload_length 0
		.amdhsa_user_sgpr_kernarg_preload_offset 0
		.amdhsa_user_sgpr_private_segment_size 0
		.amdhsa_uses_dynamic_stack 0
		.amdhsa_system_sgpr_private_segment_wavefront_offset 1
		.amdhsa_system_sgpr_workgroup_id_x 1
		.amdhsa_system_sgpr_workgroup_id_y 0
		.amdhsa_system_sgpr_workgroup_id_z 0
		.amdhsa_system_sgpr_workgroup_info 0
		.amdhsa_system_vgpr_workitem_id 0
		.amdhsa_next_free_vgpr 49
		.amdhsa_next_free_sgpr 34
		.amdhsa_accum_offset 52
		.amdhsa_reserve_vcc 1
		.amdhsa_reserve_flat_scratch 1
		.amdhsa_float_round_mode_32 0
		.amdhsa_float_round_mode_16_64 0
		.amdhsa_float_denorm_mode_32 3
		.amdhsa_float_denorm_mode_16_64 3
		.amdhsa_dx10_clamp 1
		.amdhsa_ieee_mode 1
		.amdhsa_fp16_overflow 0
		.amdhsa_tg_split 0
		.amdhsa_exception_fp_ieee_invalid_op 0
		.amdhsa_exception_fp_denorm_src 0
		.amdhsa_exception_fp_ieee_div_zero 0
		.amdhsa_exception_fp_ieee_overflow 0
		.amdhsa_exception_fp_ieee_underflow 0
		.amdhsa_exception_fp_ieee_inexact 0
		.amdhsa_exception_int_div_zero 0
	.end_amdhsa_kernel
	.section	.text._Z17wvSplitKQ_hf_sml_I14__hip_bfloat16N3c1015Float8_e4m3fnuzELi64ELi4ELi16ELi16ELi1ELi4EEviiiPKT0_S5_PT_PKfS9_ii,"axG",@progbits,_Z17wvSplitKQ_hf_sml_I14__hip_bfloat16N3c1015Float8_e4m3fnuzELi64ELi4ELi16ELi16ELi1ELi4EEviiiPKT0_S5_PT_PKfS9_ii,comdat
.Lfunc_end64:
	.size	_Z17wvSplitKQ_hf_sml_I14__hip_bfloat16N3c1015Float8_e4m3fnuzELi64ELi4ELi16ELi16ELi1ELi4EEviiiPKT0_S5_PT_PKfS9_ii, .Lfunc_end64-_Z17wvSplitKQ_hf_sml_I14__hip_bfloat16N3c1015Float8_e4m3fnuzELi64ELi4ELi16ELi16ELi1ELi4EEviiiPKT0_S5_PT_PKfS9_ii
                                        ; -- End function
	.section	.AMDGPU.csdata,"",@progbits
; Kernel info:
; codeLenInByte = 88
; NumSgprs: 40
; NumVgprs: 49
; NumAgprs: 0
; TotalNumVgprs: 49
; ScratchSize: 64
; MemoryBound: 0
; FloatMode: 240
; IeeeMode: 1
; LDSByteSize: 0 bytes/workgroup (compile time only)
; SGPRBlocks: 4
; VGPRBlocks: 6
; NumSGPRsForWavesPerEU: 40
; NumVGPRsForWavesPerEU: 49
; AccumOffset: 52
; Occupancy: 8
; WaveLimiterHint : 1
; COMPUTE_PGM_RSRC2:SCRATCH_EN: 1
; COMPUTE_PGM_RSRC2:USER_SGPR: 8
; COMPUTE_PGM_RSRC2:TRAP_HANDLER: 0
; COMPUTE_PGM_RSRC2:TGID_X_EN: 1
; COMPUTE_PGM_RSRC2:TGID_Y_EN: 0
; COMPUTE_PGM_RSRC2:TGID_Z_EN: 0
; COMPUTE_PGM_RSRC2:TIDIG_COMP_CNT: 0
; COMPUTE_PGM_RSRC3_GFX90A:ACCUM_OFFSET: 12
; COMPUTE_PGM_RSRC3_GFX90A:TG_SPLIT: 0
	.section	.text._Z13wvSplitKQ_hf_I14__hip_bfloat16N3c1015Float8_e4m3fnuzELi64ELi7ELi16ELi16ELi1ELi4EEviiiPKT0_S5_PT_PKfS9_ii,"axG",@progbits,_Z13wvSplitKQ_hf_I14__hip_bfloat16N3c1015Float8_e4m3fnuzELi64ELi7ELi16ELi16ELi1ELi4EEviiiPKT0_S5_PT_PKfS9_ii,comdat
	.protected	_Z13wvSplitKQ_hf_I14__hip_bfloat16N3c1015Float8_e4m3fnuzELi64ELi7ELi16ELi16ELi1ELi4EEviiiPKT0_S5_PT_PKfS9_ii ; -- Begin function _Z13wvSplitKQ_hf_I14__hip_bfloat16N3c1015Float8_e4m3fnuzELi64ELi7ELi16ELi16ELi1ELi4EEviiiPKT0_S5_PT_PKfS9_ii
	.globl	_Z13wvSplitKQ_hf_I14__hip_bfloat16N3c1015Float8_e4m3fnuzELi64ELi7ELi16ELi16ELi1ELi4EEviiiPKT0_S5_PT_PKfS9_ii
	.p2align	8
	.type	_Z13wvSplitKQ_hf_I14__hip_bfloat16N3c1015Float8_e4m3fnuzELi64ELi7ELi16ELi16ELi1ELi4EEviiiPKT0_S5_PT_PKfS9_ii,@function
_Z13wvSplitKQ_hf_I14__hip_bfloat16N3c1015Float8_e4m3fnuzELi64ELi7ELi16ELi16ELi1ELi4EEviiiPKT0_S5_PT_PKfS9_ii: ; @_Z13wvSplitKQ_hf_I14__hip_bfloat16N3c1015Float8_e4m3fnuzELi64ELi7ELi16ELi16ELi1ELi4EEviiiPKT0_S5_PT_PKfS9_ii
; %bb.0:
	s_add_u32 flat_scratch_lo, s6, s9
	s_addc_u32 flat_scratch_hi, s7, 0
	s_add_u32 s0, s0, s9
	s_addc_u32 s1, s1, 0
	s_add_u32 s8, s4, 64
	s_addc_u32 s9, s5, 0
	s_getpc_b64 s[4:5]
	s_add_u32 s4, s4, __PRETTY_FUNCTION__._Z13wvSplitKQ_hf_I14__hip_bfloat16N3c1015Float8_e4m3fnuzELi64ELi7ELi16ELi16ELi1ELi4EEviiiPKT0_S5_PT_PKfS9_ii@rel32@lo+4
	s_addc_u32 s5, s5, __PRETTY_FUNCTION__._Z13wvSplitKQ_hf_I14__hip_bfloat16N3c1015Float8_e4m3fnuzELi64ELi7ELi16ELi16ELi1ELi4EEviiiPKT0_S5_PT_PKfS9_ii@rel32@hi+12
	v_mov_b32_e32 v0, 0x66e
	v_mov_b32_e32 v1, s4
	;; [unrolled: 1-line block ×3, first 2 shown]
	s_mov_b32 s32, 0
	s_getpc_b64 s[6:7]
	s_add_u32 s6, s6, __assert_fail@rel32@lo+4
	s_addc_u32 s7, s7, __assert_fail@rel32@hi+12
	s_swappc_b64 s[30:31], s[6:7]
	.section	.rodata,"a",@progbits
	.p2align	6, 0x0
	.amdhsa_kernel _Z13wvSplitKQ_hf_I14__hip_bfloat16N3c1015Float8_e4m3fnuzELi64ELi7ELi16ELi16ELi1ELi4EEviiiPKT0_S5_PT_PKfS9_ii
		.amdhsa_group_segment_fixed_size 0
		.amdhsa_private_segment_fixed_size 64
		.amdhsa_kernarg_size 320
		.amdhsa_user_sgpr_count 8
		.amdhsa_user_sgpr_private_segment_buffer 1
		.amdhsa_user_sgpr_dispatch_ptr 0
		.amdhsa_user_sgpr_queue_ptr 0
		.amdhsa_user_sgpr_kernarg_segment_ptr 1
		.amdhsa_user_sgpr_dispatch_id 0
		.amdhsa_user_sgpr_flat_scratch_init 1
		.amdhsa_user_sgpr_kernarg_preload_length 0
		.amdhsa_user_sgpr_kernarg_preload_offset 0
		.amdhsa_user_sgpr_private_segment_size 0
		.amdhsa_uses_dynamic_stack 0
		.amdhsa_system_sgpr_private_segment_wavefront_offset 1
		.amdhsa_system_sgpr_workgroup_id_x 1
		.amdhsa_system_sgpr_workgroup_id_y 0
		.amdhsa_system_sgpr_workgroup_id_z 0
		.amdhsa_system_sgpr_workgroup_info 0
		.amdhsa_system_vgpr_workitem_id 0
		.amdhsa_next_free_vgpr 49
		.amdhsa_next_free_sgpr 34
		.amdhsa_accum_offset 52
		.amdhsa_reserve_vcc 1
		.amdhsa_reserve_flat_scratch 1
		.amdhsa_float_round_mode_32 0
		.amdhsa_float_round_mode_16_64 0
		.amdhsa_float_denorm_mode_32 3
		.amdhsa_float_denorm_mode_16_64 3
		.amdhsa_dx10_clamp 1
		.amdhsa_ieee_mode 1
		.amdhsa_fp16_overflow 0
		.amdhsa_tg_split 0
		.amdhsa_exception_fp_ieee_invalid_op 0
		.amdhsa_exception_fp_denorm_src 0
		.amdhsa_exception_fp_ieee_div_zero 0
		.amdhsa_exception_fp_ieee_overflow 0
		.amdhsa_exception_fp_ieee_underflow 0
		.amdhsa_exception_fp_ieee_inexact 0
		.amdhsa_exception_int_div_zero 0
	.end_amdhsa_kernel
	.section	.text._Z13wvSplitKQ_hf_I14__hip_bfloat16N3c1015Float8_e4m3fnuzELi64ELi7ELi16ELi16ELi1ELi4EEviiiPKT0_S5_PT_PKfS9_ii,"axG",@progbits,_Z13wvSplitKQ_hf_I14__hip_bfloat16N3c1015Float8_e4m3fnuzELi64ELi7ELi16ELi16ELi1ELi4EEviiiPKT0_S5_PT_PKfS9_ii,comdat
.Lfunc_end65:
	.size	_Z13wvSplitKQ_hf_I14__hip_bfloat16N3c1015Float8_e4m3fnuzELi64ELi7ELi16ELi16ELi1ELi4EEviiiPKT0_S5_PT_PKfS9_ii, .Lfunc_end65-_Z13wvSplitKQ_hf_I14__hip_bfloat16N3c1015Float8_e4m3fnuzELi64ELi7ELi16ELi16ELi1ELi4EEviiiPKT0_S5_PT_PKfS9_ii
                                        ; -- End function
	.section	.AMDGPU.csdata,"",@progbits
; Kernel info:
; codeLenInByte = 88
; NumSgprs: 40
; NumVgprs: 49
; NumAgprs: 0
; TotalNumVgprs: 49
; ScratchSize: 64
; MemoryBound: 0
; FloatMode: 240
; IeeeMode: 1
; LDSByteSize: 0 bytes/workgroup (compile time only)
; SGPRBlocks: 4
; VGPRBlocks: 6
; NumSGPRsForWavesPerEU: 40
; NumVGPRsForWavesPerEU: 49
; AccumOffset: 52
; Occupancy: 8
; WaveLimiterHint : 1
; COMPUTE_PGM_RSRC2:SCRATCH_EN: 1
; COMPUTE_PGM_RSRC2:USER_SGPR: 8
; COMPUTE_PGM_RSRC2:TRAP_HANDLER: 0
; COMPUTE_PGM_RSRC2:TGID_X_EN: 1
; COMPUTE_PGM_RSRC2:TGID_Y_EN: 0
; COMPUTE_PGM_RSRC2:TGID_Z_EN: 0
; COMPUTE_PGM_RSRC2:TIDIG_COMP_CNT: 0
; COMPUTE_PGM_RSRC3_GFX90A:ACCUM_OFFSET: 12
; COMPUTE_PGM_RSRC3_GFX90A:TG_SPLIT: 0
	.text
	.p2alignl 6, 3212836864
	.fill 256, 4, 3212836864
	.type	__const.__assert_fail.fmt,@object ; @__const.__assert_fail.fmt
	.section	.rodata.str1.16,"aMS",@progbits,1
	.p2align	4, 0x0
__const.__assert_fail.fmt:
	.asciz	"%s:%u: %s: Device-side assertion `%s' failed.\n"
	.size	__const.__assert_fail.fmt, 47

	.type	.str.1,@object                  ; @.str.1
	.section	.rodata.str1.1,"aMS",@progbits,1
.str.1:
	.asciz	"false"
	.size	.str.1, 6

	.type	.str.2,@object                  ; @.str.2
.str.2:
	.asciz	"/root/src/amdgpu-assembly/repos/ROCm__vllm/csrc/rocm/skinny_gemms.hip"
	.size	.str.2, 70

	.type	__PRETTY_FUNCTION__._Z17wvSplitKQ_hf_sml_I6__halfN3c1013Float8_e4m3fnELi64ELi2ELi16ELi16ELi2ELi1EEviiiPKT0_S5_PT_PKfS9_ii,@object ; @__PRETTY_FUNCTION__._Z17wvSplitKQ_hf_sml_I6__halfN3c1013Float8_e4m3fnELi64ELi2ELi16ELi16ELi2ELi1EEviiiPKT0_S5_PT_PKfS9_ii
__PRETTY_FUNCTION__._Z17wvSplitKQ_hf_sml_I6__halfN3c1013Float8_e4m3fnELi64ELi2ELi16ELi16ELi2ELi1EEviiiPKT0_S5_PT_PKfS9_ii:
	.asciz	"void wvSplitKQ_hf_sml_(const int, const int, const int, const fp8_t *, const fp8_t *__restrict, scalar_t *, const float *__restrict, const float *__restrict, const int, const int) [scalar_t = __half, fp8_t = c10::Float8_e4m3fn, THRDS = 64, YTILE = 2, WvPrGrp = 16, A_CHUNK = 16, UNRL = 2, N = 1]"
	.size	__PRETTY_FUNCTION__._Z17wvSplitKQ_hf_sml_I6__halfN3c1013Float8_e4m3fnELi64ELi2ELi16ELi16ELi2ELi1EEviiiPKT0_S5_PT_PKfS9_ii, 296

	.type	__PRETTY_FUNCTION__._Z13wvSplitKQ_hf_I6__halfN3c1013Float8_e4m3fnELi64ELi2ELi16ELi16ELi2ELi1EEviiiPKT0_S5_PT_PKfS9_ii,@object ; @__PRETTY_FUNCTION__._Z13wvSplitKQ_hf_I6__halfN3c1013Float8_e4m3fnELi64ELi2ELi16ELi16ELi2ELi1EEviiiPKT0_S5_PT_PKfS9_ii
__PRETTY_FUNCTION__._Z13wvSplitKQ_hf_I6__halfN3c1013Float8_e4m3fnELi64ELi2ELi16ELi16ELi2ELi1EEviiiPKT0_S5_PT_PKfS9_ii:
	.asciz	"void wvSplitKQ_hf_(const int, const int, const int, const fp8_t *, const fp8_t *__restrict, scalar_t *, const float *__restrict, const float *__restrict, const int, const int) [scalar_t = __half, fp8_t = c10::Float8_e4m3fn, THRDS = 64, YTILE = 2, WvPrGrp = 16, A_CHUNK = 16, UNRL = 2, N = 1]"
	.size	__PRETTY_FUNCTION__._Z13wvSplitKQ_hf_I6__halfN3c1013Float8_e4m3fnELi64ELi2ELi16ELi16ELi2ELi1EEviiiPKT0_S5_PT_PKfS9_ii, 292

	.type	__PRETTY_FUNCTION__._Z17wvSplitKQ_hf_sml_I6__halfN3c1013Float8_e4m3fnELi64ELi2ELi16ELi16ELi2ELi2EEviiiPKT0_S5_PT_PKfS9_ii,@object ; @__PRETTY_FUNCTION__._Z17wvSplitKQ_hf_sml_I6__halfN3c1013Float8_e4m3fnELi64ELi2ELi16ELi16ELi2ELi2EEviiiPKT0_S5_PT_PKfS9_ii
__PRETTY_FUNCTION__._Z17wvSplitKQ_hf_sml_I6__halfN3c1013Float8_e4m3fnELi64ELi2ELi16ELi16ELi2ELi2EEviiiPKT0_S5_PT_PKfS9_ii:
	.asciz	"void wvSplitKQ_hf_sml_(const int, const int, const int, const fp8_t *, const fp8_t *__restrict, scalar_t *, const float *__restrict, const float *__restrict, const int, const int) [scalar_t = __half, fp8_t = c10::Float8_e4m3fn, THRDS = 64, YTILE = 2, WvPrGrp = 16, A_CHUNK = 16, UNRL = 2, N = 2]"
	.size	__PRETTY_FUNCTION__._Z17wvSplitKQ_hf_sml_I6__halfN3c1013Float8_e4m3fnELi64ELi2ELi16ELi16ELi2ELi2EEviiiPKT0_S5_PT_PKfS9_ii, 296

	.type	__PRETTY_FUNCTION__._Z13wvSplitKQ_hf_I6__halfN3c1013Float8_e4m3fnELi64ELi2ELi16ELi16ELi2ELi2EEviiiPKT0_S5_PT_PKfS9_ii,@object ; @__PRETTY_FUNCTION__._Z13wvSplitKQ_hf_I6__halfN3c1013Float8_e4m3fnELi64ELi2ELi16ELi16ELi2ELi2EEviiiPKT0_S5_PT_PKfS9_ii
__PRETTY_FUNCTION__._Z13wvSplitKQ_hf_I6__halfN3c1013Float8_e4m3fnELi64ELi2ELi16ELi16ELi2ELi2EEviiiPKT0_S5_PT_PKfS9_ii:
	.asciz	"void wvSplitKQ_hf_(const int, const int, const int, const fp8_t *, const fp8_t *__restrict, scalar_t *, const float *__restrict, const float *__restrict, const int, const int) [scalar_t = __half, fp8_t = c10::Float8_e4m3fn, THRDS = 64, YTILE = 2, WvPrGrp = 16, A_CHUNK = 16, UNRL = 2, N = 2]"
	.size	__PRETTY_FUNCTION__._Z13wvSplitKQ_hf_I6__halfN3c1013Float8_e4m3fnELi64ELi2ELi16ELi16ELi2ELi2EEviiiPKT0_S5_PT_PKfS9_ii, 292

	.type	__PRETTY_FUNCTION__._Z17wvSplitKQ_hf_sml_I6__halfN3c1013Float8_e4m3fnELi64ELi4ELi16ELi16ELi1ELi3EEviiiPKT0_S5_PT_PKfS9_ii,@object ; @__PRETTY_FUNCTION__._Z17wvSplitKQ_hf_sml_I6__halfN3c1013Float8_e4m3fnELi64ELi4ELi16ELi16ELi1ELi3EEviiiPKT0_S5_PT_PKfS9_ii
__PRETTY_FUNCTION__._Z17wvSplitKQ_hf_sml_I6__halfN3c1013Float8_e4m3fnELi64ELi4ELi16ELi16ELi1ELi3EEviiiPKT0_S5_PT_PKfS9_ii:
	.asciz	"void wvSplitKQ_hf_sml_(const int, const int, const int, const fp8_t *, const fp8_t *__restrict, scalar_t *, const float *__restrict, const float *__restrict, const int, const int) [scalar_t = __half, fp8_t = c10::Float8_e4m3fn, THRDS = 64, YTILE = 4, WvPrGrp = 16, A_CHUNK = 16, UNRL = 1, N = 3]"
	.size	__PRETTY_FUNCTION__._Z17wvSplitKQ_hf_sml_I6__halfN3c1013Float8_e4m3fnELi64ELi4ELi16ELi16ELi1ELi3EEviiiPKT0_S5_PT_PKfS9_ii, 296

	.type	__PRETTY_FUNCTION__._Z13wvSplitKQ_hf_I6__halfN3c1013Float8_e4m3fnELi64ELi7ELi16ELi16ELi1ELi3EEviiiPKT0_S5_PT_PKfS9_ii,@object ; @__PRETTY_FUNCTION__._Z13wvSplitKQ_hf_I6__halfN3c1013Float8_e4m3fnELi64ELi7ELi16ELi16ELi1ELi3EEviiiPKT0_S5_PT_PKfS9_ii
__PRETTY_FUNCTION__._Z13wvSplitKQ_hf_I6__halfN3c1013Float8_e4m3fnELi64ELi7ELi16ELi16ELi1ELi3EEviiiPKT0_S5_PT_PKfS9_ii:
	.asciz	"void wvSplitKQ_hf_(const int, const int, const int, const fp8_t *, const fp8_t *__restrict, scalar_t *, const float *__restrict, const float *__restrict, const int, const int) [scalar_t = __half, fp8_t = c10::Float8_e4m3fn, THRDS = 64, YTILE = 7, WvPrGrp = 16, A_CHUNK = 16, UNRL = 1, N = 3]"
	.size	__PRETTY_FUNCTION__._Z13wvSplitKQ_hf_I6__halfN3c1013Float8_e4m3fnELi64ELi7ELi16ELi16ELi1ELi3EEviiiPKT0_S5_PT_PKfS9_ii, 292

	.type	__PRETTY_FUNCTION__._Z17wvSplitKQ_hf_sml_I6__halfN3c1013Float8_e4m3fnELi64ELi4ELi16ELi16ELi1ELi4EEviiiPKT0_S5_PT_PKfS9_ii,@object ; @__PRETTY_FUNCTION__._Z17wvSplitKQ_hf_sml_I6__halfN3c1013Float8_e4m3fnELi64ELi4ELi16ELi16ELi1ELi4EEviiiPKT0_S5_PT_PKfS9_ii
__PRETTY_FUNCTION__._Z17wvSplitKQ_hf_sml_I6__halfN3c1013Float8_e4m3fnELi64ELi4ELi16ELi16ELi1ELi4EEviiiPKT0_S5_PT_PKfS9_ii:
	.asciz	"void wvSplitKQ_hf_sml_(const int, const int, const int, const fp8_t *, const fp8_t *__restrict, scalar_t *, const float *__restrict, const float *__restrict, const int, const int) [scalar_t = __half, fp8_t = c10::Float8_e4m3fn, THRDS = 64, YTILE = 4, WvPrGrp = 16, A_CHUNK = 16, UNRL = 1, N = 4]"
	.size	__PRETTY_FUNCTION__._Z17wvSplitKQ_hf_sml_I6__halfN3c1013Float8_e4m3fnELi64ELi4ELi16ELi16ELi1ELi4EEviiiPKT0_S5_PT_PKfS9_ii, 296

	.type	__PRETTY_FUNCTION__._Z13wvSplitKQ_hf_I6__halfN3c1013Float8_e4m3fnELi64ELi7ELi16ELi16ELi1ELi4EEviiiPKT0_S5_PT_PKfS9_ii,@object ; @__PRETTY_FUNCTION__._Z13wvSplitKQ_hf_I6__halfN3c1013Float8_e4m3fnELi64ELi7ELi16ELi16ELi1ELi4EEviiiPKT0_S5_PT_PKfS9_ii
__PRETTY_FUNCTION__._Z13wvSplitKQ_hf_I6__halfN3c1013Float8_e4m3fnELi64ELi7ELi16ELi16ELi1ELi4EEviiiPKT0_S5_PT_PKfS9_ii:
	.asciz	"void wvSplitKQ_hf_(const int, const int, const int, const fp8_t *, const fp8_t *__restrict, scalar_t *, const float *__restrict, const float *__restrict, const int, const int) [scalar_t = __half, fp8_t = c10::Float8_e4m3fn, THRDS = 64, YTILE = 7, WvPrGrp = 16, A_CHUNK = 16, UNRL = 1, N = 4]"
	.size	__PRETTY_FUNCTION__._Z13wvSplitKQ_hf_I6__halfN3c1013Float8_e4m3fnELi64ELi7ELi16ELi16ELi1ELi4EEviiiPKT0_S5_PT_PKfS9_ii, 292

	.type	__PRETTY_FUNCTION__._Z17wvSplitKQ_hf_sml_I6__halfN3c1015Float8_e4m3fnuzELi64ELi2ELi16ELi16ELi2ELi1EEviiiPKT0_S5_PT_PKfS9_ii,@object ; @__PRETTY_FUNCTION__._Z17wvSplitKQ_hf_sml_I6__halfN3c1015Float8_e4m3fnuzELi64ELi2ELi16ELi16ELi2ELi1EEviiiPKT0_S5_PT_PKfS9_ii
__PRETTY_FUNCTION__._Z17wvSplitKQ_hf_sml_I6__halfN3c1015Float8_e4m3fnuzELi64ELi2ELi16ELi16ELi2ELi1EEviiiPKT0_S5_PT_PKfS9_ii:
	.asciz	"void wvSplitKQ_hf_sml_(const int, const int, const int, const fp8_t *, const fp8_t *__restrict, scalar_t *, const float *__restrict, const float *__restrict, const int, const int) [scalar_t = __half, fp8_t = c10::Float8_e4m3fnuz, THRDS = 64, YTILE = 2, WvPrGrp = 16, A_CHUNK = 16, UNRL = 2, N = 1]"
	.size	__PRETTY_FUNCTION__._Z17wvSplitKQ_hf_sml_I6__halfN3c1015Float8_e4m3fnuzELi64ELi2ELi16ELi16ELi2ELi1EEviiiPKT0_S5_PT_PKfS9_ii, 298

	.type	__PRETTY_FUNCTION__._Z13wvSplitKQ_hf_I6__halfN3c1015Float8_e4m3fnuzELi64ELi2ELi16ELi16ELi2ELi1EEviiiPKT0_S5_PT_PKfS9_ii,@object ; @__PRETTY_FUNCTION__._Z13wvSplitKQ_hf_I6__halfN3c1015Float8_e4m3fnuzELi64ELi2ELi16ELi16ELi2ELi1EEviiiPKT0_S5_PT_PKfS9_ii
__PRETTY_FUNCTION__._Z13wvSplitKQ_hf_I6__halfN3c1015Float8_e4m3fnuzELi64ELi2ELi16ELi16ELi2ELi1EEviiiPKT0_S5_PT_PKfS9_ii:
	.asciz	"void wvSplitKQ_hf_(const int, const int, const int, const fp8_t *, const fp8_t *__restrict, scalar_t *, const float *__restrict, const float *__restrict, const int, const int) [scalar_t = __half, fp8_t = c10::Float8_e4m3fnuz, THRDS = 64, YTILE = 2, WvPrGrp = 16, A_CHUNK = 16, UNRL = 2, N = 1]"
	.size	__PRETTY_FUNCTION__._Z13wvSplitKQ_hf_I6__halfN3c1015Float8_e4m3fnuzELi64ELi2ELi16ELi16ELi2ELi1EEviiiPKT0_S5_PT_PKfS9_ii, 294

	.type	__PRETTY_FUNCTION__._Z17wvSplitKQ_hf_sml_I6__halfN3c1015Float8_e4m3fnuzELi64ELi2ELi16ELi16ELi2ELi2EEviiiPKT0_S5_PT_PKfS9_ii,@object ; @__PRETTY_FUNCTION__._Z17wvSplitKQ_hf_sml_I6__halfN3c1015Float8_e4m3fnuzELi64ELi2ELi16ELi16ELi2ELi2EEviiiPKT0_S5_PT_PKfS9_ii
__PRETTY_FUNCTION__._Z17wvSplitKQ_hf_sml_I6__halfN3c1015Float8_e4m3fnuzELi64ELi2ELi16ELi16ELi2ELi2EEviiiPKT0_S5_PT_PKfS9_ii:
	.asciz	"void wvSplitKQ_hf_sml_(const int, const int, const int, const fp8_t *, const fp8_t *__restrict, scalar_t *, const float *__restrict, const float *__restrict, const int, const int) [scalar_t = __half, fp8_t = c10::Float8_e4m3fnuz, THRDS = 64, YTILE = 2, WvPrGrp = 16, A_CHUNK = 16, UNRL = 2, N = 2]"
	.size	__PRETTY_FUNCTION__._Z17wvSplitKQ_hf_sml_I6__halfN3c1015Float8_e4m3fnuzELi64ELi2ELi16ELi16ELi2ELi2EEviiiPKT0_S5_PT_PKfS9_ii, 298

	.type	__PRETTY_FUNCTION__._Z13wvSplitKQ_hf_I6__halfN3c1015Float8_e4m3fnuzELi64ELi2ELi16ELi16ELi2ELi2EEviiiPKT0_S5_PT_PKfS9_ii,@object ; @__PRETTY_FUNCTION__._Z13wvSplitKQ_hf_I6__halfN3c1015Float8_e4m3fnuzELi64ELi2ELi16ELi16ELi2ELi2EEviiiPKT0_S5_PT_PKfS9_ii
__PRETTY_FUNCTION__._Z13wvSplitKQ_hf_I6__halfN3c1015Float8_e4m3fnuzELi64ELi2ELi16ELi16ELi2ELi2EEviiiPKT0_S5_PT_PKfS9_ii:
	.asciz	"void wvSplitKQ_hf_(const int, const int, const int, const fp8_t *, const fp8_t *__restrict, scalar_t *, const float *__restrict, const float *__restrict, const int, const int) [scalar_t = __half, fp8_t = c10::Float8_e4m3fnuz, THRDS = 64, YTILE = 2, WvPrGrp = 16, A_CHUNK = 16, UNRL = 2, N = 2]"
	.size	__PRETTY_FUNCTION__._Z13wvSplitKQ_hf_I6__halfN3c1015Float8_e4m3fnuzELi64ELi2ELi16ELi16ELi2ELi2EEviiiPKT0_S5_PT_PKfS9_ii, 294

	.type	__PRETTY_FUNCTION__._Z17wvSplitKQ_hf_sml_I6__halfN3c1015Float8_e4m3fnuzELi64ELi4ELi16ELi16ELi1ELi3EEviiiPKT0_S5_PT_PKfS9_ii,@object ; @__PRETTY_FUNCTION__._Z17wvSplitKQ_hf_sml_I6__halfN3c1015Float8_e4m3fnuzELi64ELi4ELi16ELi16ELi1ELi3EEviiiPKT0_S5_PT_PKfS9_ii
__PRETTY_FUNCTION__._Z17wvSplitKQ_hf_sml_I6__halfN3c1015Float8_e4m3fnuzELi64ELi4ELi16ELi16ELi1ELi3EEviiiPKT0_S5_PT_PKfS9_ii:
	.asciz	"void wvSplitKQ_hf_sml_(const int, const int, const int, const fp8_t *, const fp8_t *__restrict, scalar_t *, const float *__restrict, const float *__restrict, const int, const int) [scalar_t = __half, fp8_t = c10::Float8_e4m3fnuz, THRDS = 64, YTILE = 4, WvPrGrp = 16, A_CHUNK = 16, UNRL = 1, N = 3]"
	.size	__PRETTY_FUNCTION__._Z17wvSplitKQ_hf_sml_I6__halfN3c1015Float8_e4m3fnuzELi64ELi4ELi16ELi16ELi1ELi3EEviiiPKT0_S5_PT_PKfS9_ii, 298

	.type	__PRETTY_FUNCTION__._Z13wvSplitKQ_hf_I6__halfN3c1015Float8_e4m3fnuzELi64ELi7ELi16ELi16ELi1ELi3EEviiiPKT0_S5_PT_PKfS9_ii,@object ; @__PRETTY_FUNCTION__._Z13wvSplitKQ_hf_I6__halfN3c1015Float8_e4m3fnuzELi64ELi7ELi16ELi16ELi1ELi3EEviiiPKT0_S5_PT_PKfS9_ii
__PRETTY_FUNCTION__._Z13wvSplitKQ_hf_I6__halfN3c1015Float8_e4m3fnuzELi64ELi7ELi16ELi16ELi1ELi3EEviiiPKT0_S5_PT_PKfS9_ii:
	.asciz	"void wvSplitKQ_hf_(const int, const int, const int, const fp8_t *, const fp8_t *__restrict, scalar_t *, const float *__restrict, const float *__restrict, const int, const int) [scalar_t = __half, fp8_t = c10::Float8_e4m3fnuz, THRDS = 64, YTILE = 7, WvPrGrp = 16, A_CHUNK = 16, UNRL = 1, N = 3]"
	.size	__PRETTY_FUNCTION__._Z13wvSplitKQ_hf_I6__halfN3c1015Float8_e4m3fnuzELi64ELi7ELi16ELi16ELi1ELi3EEviiiPKT0_S5_PT_PKfS9_ii, 294

	.type	__PRETTY_FUNCTION__._Z17wvSplitKQ_hf_sml_I6__halfN3c1015Float8_e4m3fnuzELi64ELi4ELi16ELi16ELi1ELi4EEviiiPKT0_S5_PT_PKfS9_ii,@object ; @__PRETTY_FUNCTION__._Z17wvSplitKQ_hf_sml_I6__halfN3c1015Float8_e4m3fnuzELi64ELi4ELi16ELi16ELi1ELi4EEviiiPKT0_S5_PT_PKfS9_ii
__PRETTY_FUNCTION__._Z17wvSplitKQ_hf_sml_I6__halfN3c1015Float8_e4m3fnuzELi64ELi4ELi16ELi16ELi1ELi4EEviiiPKT0_S5_PT_PKfS9_ii:
	.asciz	"void wvSplitKQ_hf_sml_(const int, const int, const int, const fp8_t *, const fp8_t *__restrict, scalar_t *, const float *__restrict, const float *__restrict, const int, const int) [scalar_t = __half, fp8_t = c10::Float8_e4m3fnuz, THRDS = 64, YTILE = 4, WvPrGrp = 16, A_CHUNK = 16, UNRL = 1, N = 4]"
	.size	__PRETTY_FUNCTION__._Z17wvSplitKQ_hf_sml_I6__halfN3c1015Float8_e4m3fnuzELi64ELi4ELi16ELi16ELi1ELi4EEviiiPKT0_S5_PT_PKfS9_ii, 298

	.type	__PRETTY_FUNCTION__._Z13wvSplitKQ_hf_I6__halfN3c1015Float8_e4m3fnuzELi64ELi7ELi16ELi16ELi1ELi4EEviiiPKT0_S5_PT_PKfS9_ii,@object ; @__PRETTY_FUNCTION__._Z13wvSplitKQ_hf_I6__halfN3c1015Float8_e4m3fnuzELi64ELi7ELi16ELi16ELi1ELi4EEviiiPKT0_S5_PT_PKfS9_ii
__PRETTY_FUNCTION__._Z13wvSplitKQ_hf_I6__halfN3c1015Float8_e4m3fnuzELi64ELi7ELi16ELi16ELi1ELi4EEviiiPKT0_S5_PT_PKfS9_ii:
	.asciz	"void wvSplitKQ_hf_(const int, const int, const int, const fp8_t *, const fp8_t *__restrict, scalar_t *, const float *__restrict, const float *__restrict, const int, const int) [scalar_t = __half, fp8_t = c10::Float8_e4m3fnuz, THRDS = 64, YTILE = 7, WvPrGrp = 16, A_CHUNK = 16, UNRL = 1, N = 4]"
	.size	__PRETTY_FUNCTION__._Z13wvSplitKQ_hf_I6__halfN3c1015Float8_e4m3fnuzELi64ELi7ELi16ELi16ELi1ELi4EEviiiPKT0_S5_PT_PKfS9_ii, 294

	.type	__PRETTY_FUNCTION__._Z17wvSplitKQ_hf_sml_I14__hip_bfloat16N3c1013Float8_e4m3fnELi64ELi2ELi16ELi16ELi2ELi1EEviiiPKT0_S5_PT_PKfS9_ii,@object ; @__PRETTY_FUNCTION__._Z17wvSplitKQ_hf_sml_I14__hip_bfloat16N3c1013Float8_e4m3fnELi64ELi2ELi16ELi16ELi2ELi1EEviiiPKT0_S5_PT_PKfS9_ii
__PRETTY_FUNCTION__._Z17wvSplitKQ_hf_sml_I14__hip_bfloat16N3c1013Float8_e4m3fnELi64ELi2ELi16ELi16ELi2ELi1EEviiiPKT0_S5_PT_PKfS9_ii:
	.asciz	"void wvSplitKQ_hf_sml_(const int, const int, const int, const fp8_t *, const fp8_t *__restrict, scalar_t *, const float *__restrict, const float *__restrict, const int, const int) [scalar_t = __hip_bfloat16, fp8_t = c10::Float8_e4m3fn, THRDS = 64, YTILE = 2, WvPrGrp = 16, A_CHUNK = 16, UNRL = 2, N = 1]"
	.size	__PRETTY_FUNCTION__._Z17wvSplitKQ_hf_sml_I14__hip_bfloat16N3c1013Float8_e4m3fnELi64ELi2ELi16ELi16ELi2ELi1EEviiiPKT0_S5_PT_PKfS9_ii, 304

	.type	__PRETTY_FUNCTION__._Z13wvSplitKQ_hf_I14__hip_bfloat16N3c1013Float8_e4m3fnELi64ELi2ELi16ELi16ELi2ELi1EEviiiPKT0_S5_PT_PKfS9_ii,@object ; @__PRETTY_FUNCTION__._Z13wvSplitKQ_hf_I14__hip_bfloat16N3c1013Float8_e4m3fnELi64ELi2ELi16ELi16ELi2ELi1EEviiiPKT0_S5_PT_PKfS9_ii
__PRETTY_FUNCTION__._Z13wvSplitKQ_hf_I14__hip_bfloat16N3c1013Float8_e4m3fnELi64ELi2ELi16ELi16ELi2ELi1EEviiiPKT0_S5_PT_PKfS9_ii:
	.asciz	"void wvSplitKQ_hf_(const int, const int, const int, const fp8_t *, const fp8_t *__restrict, scalar_t *, const float *__restrict, const float *__restrict, const int, const int) [scalar_t = __hip_bfloat16, fp8_t = c10::Float8_e4m3fn, THRDS = 64, YTILE = 2, WvPrGrp = 16, A_CHUNK = 16, UNRL = 2, N = 1]"
	.size	__PRETTY_FUNCTION__._Z13wvSplitKQ_hf_I14__hip_bfloat16N3c1013Float8_e4m3fnELi64ELi2ELi16ELi16ELi2ELi1EEviiiPKT0_S5_PT_PKfS9_ii, 300

	.type	__PRETTY_FUNCTION__._Z17wvSplitKQ_hf_sml_I14__hip_bfloat16N3c1013Float8_e4m3fnELi64ELi2ELi16ELi16ELi2ELi2EEviiiPKT0_S5_PT_PKfS9_ii,@object ; @__PRETTY_FUNCTION__._Z17wvSplitKQ_hf_sml_I14__hip_bfloat16N3c1013Float8_e4m3fnELi64ELi2ELi16ELi16ELi2ELi2EEviiiPKT0_S5_PT_PKfS9_ii
__PRETTY_FUNCTION__._Z17wvSplitKQ_hf_sml_I14__hip_bfloat16N3c1013Float8_e4m3fnELi64ELi2ELi16ELi16ELi2ELi2EEviiiPKT0_S5_PT_PKfS9_ii:
	.asciz	"void wvSplitKQ_hf_sml_(const int, const int, const int, const fp8_t *, const fp8_t *__restrict, scalar_t *, const float *__restrict, const float *__restrict, const int, const int) [scalar_t = __hip_bfloat16, fp8_t = c10::Float8_e4m3fn, THRDS = 64, YTILE = 2, WvPrGrp = 16, A_CHUNK = 16, UNRL = 2, N = 2]"
	.size	__PRETTY_FUNCTION__._Z17wvSplitKQ_hf_sml_I14__hip_bfloat16N3c1013Float8_e4m3fnELi64ELi2ELi16ELi16ELi2ELi2EEviiiPKT0_S5_PT_PKfS9_ii, 304

	.type	__PRETTY_FUNCTION__._Z13wvSplitKQ_hf_I14__hip_bfloat16N3c1013Float8_e4m3fnELi64ELi2ELi16ELi16ELi2ELi2EEviiiPKT0_S5_PT_PKfS9_ii,@object ; @__PRETTY_FUNCTION__._Z13wvSplitKQ_hf_I14__hip_bfloat16N3c1013Float8_e4m3fnELi64ELi2ELi16ELi16ELi2ELi2EEviiiPKT0_S5_PT_PKfS9_ii
__PRETTY_FUNCTION__._Z13wvSplitKQ_hf_I14__hip_bfloat16N3c1013Float8_e4m3fnELi64ELi2ELi16ELi16ELi2ELi2EEviiiPKT0_S5_PT_PKfS9_ii:
	.asciz	"void wvSplitKQ_hf_(const int, const int, const int, const fp8_t *, const fp8_t *__restrict, scalar_t *, const float *__restrict, const float *__restrict, const int, const int) [scalar_t = __hip_bfloat16, fp8_t = c10::Float8_e4m3fn, THRDS = 64, YTILE = 2, WvPrGrp = 16, A_CHUNK = 16, UNRL = 2, N = 2]"
	.size	__PRETTY_FUNCTION__._Z13wvSplitKQ_hf_I14__hip_bfloat16N3c1013Float8_e4m3fnELi64ELi2ELi16ELi16ELi2ELi2EEviiiPKT0_S5_PT_PKfS9_ii, 300

	.type	__PRETTY_FUNCTION__._Z17wvSplitKQ_hf_sml_I14__hip_bfloat16N3c1013Float8_e4m3fnELi64ELi4ELi16ELi16ELi1ELi3EEviiiPKT0_S5_PT_PKfS9_ii,@object ; @__PRETTY_FUNCTION__._Z17wvSplitKQ_hf_sml_I14__hip_bfloat16N3c1013Float8_e4m3fnELi64ELi4ELi16ELi16ELi1ELi3EEviiiPKT0_S5_PT_PKfS9_ii
__PRETTY_FUNCTION__._Z17wvSplitKQ_hf_sml_I14__hip_bfloat16N3c1013Float8_e4m3fnELi64ELi4ELi16ELi16ELi1ELi3EEviiiPKT0_S5_PT_PKfS9_ii:
	.asciz	"void wvSplitKQ_hf_sml_(const int, const int, const int, const fp8_t *, const fp8_t *__restrict, scalar_t *, const float *__restrict, const float *__restrict, const int, const int) [scalar_t = __hip_bfloat16, fp8_t = c10::Float8_e4m3fn, THRDS = 64, YTILE = 4, WvPrGrp = 16, A_CHUNK = 16, UNRL = 1, N = 3]"
	.size	__PRETTY_FUNCTION__._Z17wvSplitKQ_hf_sml_I14__hip_bfloat16N3c1013Float8_e4m3fnELi64ELi4ELi16ELi16ELi1ELi3EEviiiPKT0_S5_PT_PKfS9_ii, 304

	.type	__PRETTY_FUNCTION__._Z13wvSplitKQ_hf_I14__hip_bfloat16N3c1013Float8_e4m3fnELi64ELi7ELi16ELi16ELi1ELi3EEviiiPKT0_S5_PT_PKfS9_ii,@object ; @__PRETTY_FUNCTION__._Z13wvSplitKQ_hf_I14__hip_bfloat16N3c1013Float8_e4m3fnELi64ELi7ELi16ELi16ELi1ELi3EEviiiPKT0_S5_PT_PKfS9_ii
__PRETTY_FUNCTION__._Z13wvSplitKQ_hf_I14__hip_bfloat16N3c1013Float8_e4m3fnELi64ELi7ELi16ELi16ELi1ELi3EEviiiPKT0_S5_PT_PKfS9_ii:
	.asciz	"void wvSplitKQ_hf_(const int, const int, const int, const fp8_t *, const fp8_t *__restrict, scalar_t *, const float *__restrict, const float *__restrict, const int, const int) [scalar_t = __hip_bfloat16, fp8_t = c10::Float8_e4m3fn, THRDS = 64, YTILE = 7, WvPrGrp = 16, A_CHUNK = 16, UNRL = 1, N = 3]"
	.size	__PRETTY_FUNCTION__._Z13wvSplitKQ_hf_I14__hip_bfloat16N3c1013Float8_e4m3fnELi64ELi7ELi16ELi16ELi1ELi3EEviiiPKT0_S5_PT_PKfS9_ii, 300

	.type	__PRETTY_FUNCTION__._Z17wvSplitKQ_hf_sml_I14__hip_bfloat16N3c1013Float8_e4m3fnELi64ELi4ELi16ELi16ELi1ELi4EEviiiPKT0_S5_PT_PKfS9_ii,@object ; @__PRETTY_FUNCTION__._Z17wvSplitKQ_hf_sml_I14__hip_bfloat16N3c1013Float8_e4m3fnELi64ELi4ELi16ELi16ELi1ELi4EEviiiPKT0_S5_PT_PKfS9_ii
__PRETTY_FUNCTION__._Z17wvSplitKQ_hf_sml_I14__hip_bfloat16N3c1013Float8_e4m3fnELi64ELi4ELi16ELi16ELi1ELi4EEviiiPKT0_S5_PT_PKfS9_ii:
	.asciz	"void wvSplitKQ_hf_sml_(const int, const int, const int, const fp8_t *, const fp8_t *__restrict, scalar_t *, const float *__restrict, const float *__restrict, const int, const int) [scalar_t = __hip_bfloat16, fp8_t = c10::Float8_e4m3fn, THRDS = 64, YTILE = 4, WvPrGrp = 16, A_CHUNK = 16, UNRL = 1, N = 4]"
	.size	__PRETTY_FUNCTION__._Z17wvSplitKQ_hf_sml_I14__hip_bfloat16N3c1013Float8_e4m3fnELi64ELi4ELi16ELi16ELi1ELi4EEviiiPKT0_S5_PT_PKfS9_ii, 304

	.type	__PRETTY_FUNCTION__._Z13wvSplitKQ_hf_I14__hip_bfloat16N3c1013Float8_e4m3fnELi64ELi7ELi16ELi16ELi1ELi4EEviiiPKT0_S5_PT_PKfS9_ii,@object ; @__PRETTY_FUNCTION__._Z13wvSplitKQ_hf_I14__hip_bfloat16N3c1013Float8_e4m3fnELi64ELi7ELi16ELi16ELi1ELi4EEviiiPKT0_S5_PT_PKfS9_ii
__PRETTY_FUNCTION__._Z13wvSplitKQ_hf_I14__hip_bfloat16N3c1013Float8_e4m3fnELi64ELi7ELi16ELi16ELi1ELi4EEviiiPKT0_S5_PT_PKfS9_ii:
	.asciz	"void wvSplitKQ_hf_(const int, const int, const int, const fp8_t *, const fp8_t *__restrict, scalar_t *, const float *__restrict, const float *__restrict, const int, const int) [scalar_t = __hip_bfloat16, fp8_t = c10::Float8_e4m3fn, THRDS = 64, YTILE = 7, WvPrGrp = 16, A_CHUNK = 16, UNRL = 1, N = 4]"
	.size	__PRETTY_FUNCTION__._Z13wvSplitKQ_hf_I14__hip_bfloat16N3c1013Float8_e4m3fnELi64ELi7ELi16ELi16ELi1ELi4EEviiiPKT0_S5_PT_PKfS9_ii, 300

	.type	__PRETTY_FUNCTION__._Z17wvSplitKQ_hf_sml_I14__hip_bfloat16N3c1015Float8_e4m3fnuzELi64ELi2ELi16ELi16ELi2ELi1EEviiiPKT0_S5_PT_PKfS9_ii,@object ; @__PRETTY_FUNCTION__._Z17wvSplitKQ_hf_sml_I14__hip_bfloat16N3c1015Float8_e4m3fnuzELi64ELi2ELi16ELi16ELi2ELi1EEviiiPKT0_S5_PT_PKfS9_ii
__PRETTY_FUNCTION__._Z17wvSplitKQ_hf_sml_I14__hip_bfloat16N3c1015Float8_e4m3fnuzELi64ELi2ELi16ELi16ELi2ELi1EEviiiPKT0_S5_PT_PKfS9_ii:
	.asciz	"void wvSplitKQ_hf_sml_(const int, const int, const int, const fp8_t *, const fp8_t *__restrict, scalar_t *, const float *__restrict, const float *__restrict, const int, const int) [scalar_t = __hip_bfloat16, fp8_t = c10::Float8_e4m3fnuz, THRDS = 64, YTILE = 2, WvPrGrp = 16, A_CHUNK = 16, UNRL = 2, N = 1]"
	.size	__PRETTY_FUNCTION__._Z17wvSplitKQ_hf_sml_I14__hip_bfloat16N3c1015Float8_e4m3fnuzELi64ELi2ELi16ELi16ELi2ELi1EEviiiPKT0_S5_PT_PKfS9_ii, 306

	.type	__PRETTY_FUNCTION__._Z13wvSplitKQ_hf_I14__hip_bfloat16N3c1015Float8_e4m3fnuzELi64ELi2ELi16ELi16ELi2ELi1EEviiiPKT0_S5_PT_PKfS9_ii,@object ; @__PRETTY_FUNCTION__._Z13wvSplitKQ_hf_I14__hip_bfloat16N3c1015Float8_e4m3fnuzELi64ELi2ELi16ELi16ELi2ELi1EEviiiPKT0_S5_PT_PKfS9_ii
__PRETTY_FUNCTION__._Z13wvSplitKQ_hf_I14__hip_bfloat16N3c1015Float8_e4m3fnuzELi64ELi2ELi16ELi16ELi2ELi1EEviiiPKT0_S5_PT_PKfS9_ii:
	.asciz	"void wvSplitKQ_hf_(const int, const int, const int, const fp8_t *, const fp8_t *__restrict, scalar_t *, const float *__restrict, const float *__restrict, const int, const int) [scalar_t = __hip_bfloat16, fp8_t = c10::Float8_e4m3fnuz, THRDS = 64, YTILE = 2, WvPrGrp = 16, A_CHUNK = 16, UNRL = 2, N = 1]"
	.size	__PRETTY_FUNCTION__._Z13wvSplitKQ_hf_I14__hip_bfloat16N3c1015Float8_e4m3fnuzELi64ELi2ELi16ELi16ELi2ELi1EEviiiPKT0_S5_PT_PKfS9_ii, 302

	.type	__PRETTY_FUNCTION__._Z17wvSplitKQ_hf_sml_I14__hip_bfloat16N3c1015Float8_e4m3fnuzELi64ELi2ELi16ELi16ELi2ELi2EEviiiPKT0_S5_PT_PKfS9_ii,@object ; @__PRETTY_FUNCTION__._Z17wvSplitKQ_hf_sml_I14__hip_bfloat16N3c1015Float8_e4m3fnuzELi64ELi2ELi16ELi16ELi2ELi2EEviiiPKT0_S5_PT_PKfS9_ii
__PRETTY_FUNCTION__._Z17wvSplitKQ_hf_sml_I14__hip_bfloat16N3c1015Float8_e4m3fnuzELi64ELi2ELi16ELi16ELi2ELi2EEviiiPKT0_S5_PT_PKfS9_ii:
	.asciz	"void wvSplitKQ_hf_sml_(const int, const int, const int, const fp8_t *, const fp8_t *__restrict, scalar_t *, const float *__restrict, const float *__restrict, const int, const int) [scalar_t = __hip_bfloat16, fp8_t = c10::Float8_e4m3fnuz, THRDS = 64, YTILE = 2, WvPrGrp = 16, A_CHUNK = 16, UNRL = 2, N = 2]"
	.size	__PRETTY_FUNCTION__._Z17wvSplitKQ_hf_sml_I14__hip_bfloat16N3c1015Float8_e4m3fnuzELi64ELi2ELi16ELi16ELi2ELi2EEviiiPKT0_S5_PT_PKfS9_ii, 306

	.type	__PRETTY_FUNCTION__._Z13wvSplitKQ_hf_I14__hip_bfloat16N3c1015Float8_e4m3fnuzELi64ELi2ELi16ELi16ELi2ELi2EEviiiPKT0_S5_PT_PKfS9_ii,@object ; @__PRETTY_FUNCTION__._Z13wvSplitKQ_hf_I14__hip_bfloat16N3c1015Float8_e4m3fnuzELi64ELi2ELi16ELi16ELi2ELi2EEviiiPKT0_S5_PT_PKfS9_ii
__PRETTY_FUNCTION__._Z13wvSplitKQ_hf_I14__hip_bfloat16N3c1015Float8_e4m3fnuzELi64ELi2ELi16ELi16ELi2ELi2EEviiiPKT0_S5_PT_PKfS9_ii:
	.asciz	"void wvSplitKQ_hf_(const int, const int, const int, const fp8_t *, const fp8_t *__restrict, scalar_t *, const float *__restrict, const float *__restrict, const int, const int) [scalar_t = __hip_bfloat16, fp8_t = c10::Float8_e4m3fnuz, THRDS = 64, YTILE = 2, WvPrGrp = 16, A_CHUNK = 16, UNRL = 2, N = 2]"
	.size	__PRETTY_FUNCTION__._Z13wvSplitKQ_hf_I14__hip_bfloat16N3c1015Float8_e4m3fnuzELi64ELi2ELi16ELi16ELi2ELi2EEviiiPKT0_S5_PT_PKfS9_ii, 302

	.type	__PRETTY_FUNCTION__._Z17wvSplitKQ_hf_sml_I14__hip_bfloat16N3c1015Float8_e4m3fnuzELi64ELi4ELi16ELi16ELi1ELi3EEviiiPKT0_S5_PT_PKfS9_ii,@object ; @__PRETTY_FUNCTION__._Z17wvSplitKQ_hf_sml_I14__hip_bfloat16N3c1015Float8_e4m3fnuzELi64ELi4ELi16ELi16ELi1ELi3EEviiiPKT0_S5_PT_PKfS9_ii
__PRETTY_FUNCTION__._Z17wvSplitKQ_hf_sml_I14__hip_bfloat16N3c1015Float8_e4m3fnuzELi64ELi4ELi16ELi16ELi1ELi3EEviiiPKT0_S5_PT_PKfS9_ii:
	.asciz	"void wvSplitKQ_hf_sml_(const int, const int, const int, const fp8_t *, const fp8_t *__restrict, scalar_t *, const float *__restrict, const float *__restrict, const int, const int) [scalar_t = __hip_bfloat16, fp8_t = c10::Float8_e4m3fnuz, THRDS = 64, YTILE = 4, WvPrGrp = 16, A_CHUNK = 16, UNRL = 1, N = 3]"
	.size	__PRETTY_FUNCTION__._Z17wvSplitKQ_hf_sml_I14__hip_bfloat16N3c1015Float8_e4m3fnuzELi64ELi4ELi16ELi16ELi1ELi3EEviiiPKT0_S5_PT_PKfS9_ii, 306

	.type	__PRETTY_FUNCTION__._Z13wvSplitKQ_hf_I14__hip_bfloat16N3c1015Float8_e4m3fnuzELi64ELi7ELi16ELi16ELi1ELi3EEviiiPKT0_S5_PT_PKfS9_ii,@object ; @__PRETTY_FUNCTION__._Z13wvSplitKQ_hf_I14__hip_bfloat16N3c1015Float8_e4m3fnuzELi64ELi7ELi16ELi16ELi1ELi3EEviiiPKT0_S5_PT_PKfS9_ii
__PRETTY_FUNCTION__._Z13wvSplitKQ_hf_I14__hip_bfloat16N3c1015Float8_e4m3fnuzELi64ELi7ELi16ELi16ELi1ELi3EEviiiPKT0_S5_PT_PKfS9_ii:
	.asciz	"void wvSplitKQ_hf_(const int, const int, const int, const fp8_t *, const fp8_t *__restrict, scalar_t *, const float *__restrict, const float *__restrict, const int, const int) [scalar_t = __hip_bfloat16, fp8_t = c10::Float8_e4m3fnuz, THRDS = 64, YTILE = 7, WvPrGrp = 16, A_CHUNK = 16, UNRL = 1, N = 3]"
	.size	__PRETTY_FUNCTION__._Z13wvSplitKQ_hf_I14__hip_bfloat16N3c1015Float8_e4m3fnuzELi64ELi7ELi16ELi16ELi1ELi3EEviiiPKT0_S5_PT_PKfS9_ii, 302

	.type	__PRETTY_FUNCTION__._Z17wvSplitKQ_hf_sml_I14__hip_bfloat16N3c1015Float8_e4m3fnuzELi64ELi4ELi16ELi16ELi1ELi4EEviiiPKT0_S5_PT_PKfS9_ii,@object ; @__PRETTY_FUNCTION__._Z17wvSplitKQ_hf_sml_I14__hip_bfloat16N3c1015Float8_e4m3fnuzELi64ELi4ELi16ELi16ELi1ELi4EEviiiPKT0_S5_PT_PKfS9_ii
__PRETTY_FUNCTION__._Z17wvSplitKQ_hf_sml_I14__hip_bfloat16N3c1015Float8_e4m3fnuzELi64ELi4ELi16ELi16ELi1ELi4EEviiiPKT0_S5_PT_PKfS9_ii:
	.asciz	"void wvSplitKQ_hf_sml_(const int, const int, const int, const fp8_t *, const fp8_t *__restrict, scalar_t *, const float *__restrict, const float *__restrict, const int, const int) [scalar_t = __hip_bfloat16, fp8_t = c10::Float8_e4m3fnuz, THRDS = 64, YTILE = 4, WvPrGrp = 16, A_CHUNK = 16, UNRL = 1, N = 4]"
	.size	__PRETTY_FUNCTION__._Z17wvSplitKQ_hf_sml_I14__hip_bfloat16N3c1015Float8_e4m3fnuzELi64ELi4ELi16ELi16ELi1ELi4EEviiiPKT0_S5_PT_PKfS9_ii, 306

	.type	__PRETTY_FUNCTION__._Z13wvSplitKQ_hf_I14__hip_bfloat16N3c1015Float8_e4m3fnuzELi64ELi7ELi16ELi16ELi1ELi4EEviiiPKT0_S5_PT_PKfS9_ii,@object ; @__PRETTY_FUNCTION__._Z13wvSplitKQ_hf_I14__hip_bfloat16N3c1015Float8_e4m3fnuzELi64ELi7ELi16ELi16ELi1ELi4EEviiiPKT0_S5_PT_PKfS9_ii
__PRETTY_FUNCTION__._Z13wvSplitKQ_hf_I14__hip_bfloat16N3c1015Float8_e4m3fnuzELi64ELi7ELi16ELi16ELi1ELi4EEviiiPKT0_S5_PT_PKfS9_ii:
	.asciz	"void wvSplitKQ_hf_(const int, const int, const int, const fp8_t *, const fp8_t *__restrict, scalar_t *, const float *__restrict, const float *__restrict, const int, const int) [scalar_t = __hip_bfloat16, fp8_t = c10::Float8_e4m3fnuz, THRDS = 64, YTILE = 7, WvPrGrp = 16, A_CHUNK = 16, UNRL = 1, N = 4]"
	.size	__PRETTY_FUNCTION__._Z13wvSplitKQ_hf_I14__hip_bfloat16N3c1015Float8_e4m3fnuzELi64ELi7ELi16ELi16ELi1ELi4EEviiiPKT0_S5_PT_PKfS9_ii, 302

	.type	__hip_cuid_fc27500de2794110,@object ; @__hip_cuid_fc27500de2794110
	.section	.bss,"aw",@nobits
	.globl	__hip_cuid_fc27500de2794110
__hip_cuid_fc27500de2794110:
	.byte	0                               ; 0x0
	.size	__hip_cuid_fc27500de2794110, 1

	.ident	"AMD clang version 19.0.0git (https://github.com/RadeonOpenCompute/llvm-project roc-6.4.0 25133 c7fe45cf4b819c5991fe208aaa96edf142730f1d)"
	.section	".note.GNU-stack","",@progbits
	.addrsig
	.addrsig_sym __hip_cuid_fc27500de2794110
	.amdgpu_metadata
---
amdhsa.kernels:
  - .agpr_count:     0
    .args:
      - .address_space:  global
        .offset:         0
        .size:           8
        .value_kind:     global_buffer
      - .address_space:  global
        .offset:         8
        .size:           8
        .value_kind:     global_buffer
      - .address_space:  global
        .offset:         16
        .size:           8
        .value_kind:     global_buffer
      - .offset:         24
        .size:           4
        .value_kind:     by_value
      - .offset:         32
        .size:           4
        .value_kind:     hidden_block_count_x
      - .offset:         36
        .size:           4
        .value_kind:     hidden_block_count_y
      - .offset:         40
        .size:           4
        .value_kind:     hidden_block_count_z
      - .offset:         44
        .size:           2
        .value_kind:     hidden_group_size_x
      - .offset:         46
        .size:           2
        .value_kind:     hidden_group_size_y
      - .offset:         48
        .size:           2
        .value_kind:     hidden_group_size_z
      - .offset:         50
        .size:           2
        .value_kind:     hidden_remainder_x
      - .offset:         52
        .size:           2
        .value_kind:     hidden_remainder_y
      - .offset:         54
        .size:           2
        .value_kind:     hidden_remainder_z
      - .offset:         72
        .size:           8
        .value_kind:     hidden_global_offset_x
      - .offset:         80
        .size:           8
        .value_kind:     hidden_global_offset_y
      - .offset:         88
        .size:           8
        .value_kind:     hidden_global_offset_z
      - .offset:         96
        .size:           2
        .value_kind:     hidden_grid_dims
    .group_segment_fixed_size: 512
    .kernarg_segment_align: 8
    .kernarg_segment_size: 288
    .language:       OpenCL C
    .language_version:
      - 2
      - 0
    .max_flat_workgroup_size: 1024
    .name:           _Z14LLGemm1_kernelIN3c104HalfELi2EEvPKT_S4_PS2_i
    .private_segment_fixed_size: 0
    .sgpr_count:     18
    .sgpr_spill_count: 0
    .symbol:         _Z14LLGemm1_kernelIN3c104HalfELi2EEvPKT_S4_PS2_i.kd
    .uniform_work_group_size: 1
    .uses_dynamic_stack: false
    .vgpr_count:     14
    .vgpr_spill_count: 0
    .wavefront_size: 64
  - .agpr_count:     0
    .args:
      - .address_space:  global
        .offset:         0
        .size:           8
        .value_kind:     global_buffer
      - .address_space:  global
        .offset:         8
        .size:           8
        .value_kind:     global_buffer
      - .address_space:  global
        .offset:         16
        .size:           8
        .value_kind:     global_buffer
      - .offset:         24
        .size:           4
        .value_kind:     by_value
      - .offset:         32
        .size:           4
        .value_kind:     hidden_block_count_x
      - .offset:         36
        .size:           4
        .value_kind:     hidden_block_count_y
      - .offset:         40
        .size:           4
        .value_kind:     hidden_block_count_z
      - .offset:         44
        .size:           2
        .value_kind:     hidden_group_size_x
      - .offset:         46
        .size:           2
        .value_kind:     hidden_group_size_y
      - .offset:         48
        .size:           2
        .value_kind:     hidden_group_size_z
      - .offset:         50
        .size:           2
        .value_kind:     hidden_remainder_x
      - .offset:         52
        .size:           2
        .value_kind:     hidden_remainder_y
      - .offset:         54
        .size:           2
        .value_kind:     hidden_remainder_z
      - .offset:         72
        .size:           8
        .value_kind:     hidden_global_offset_x
      - .offset:         80
        .size:           8
        .value_kind:     hidden_global_offset_y
      - .offset:         88
        .size:           8
        .value_kind:     hidden_global_offset_z
      - .offset:         96
        .size:           2
        .value_kind:     hidden_grid_dims
    .group_segment_fixed_size: 1024
    .kernarg_segment_align: 8
    .kernarg_segment_size: 288
    .language:       OpenCL C
    .language_version:
      - 2
      - 0
    .max_flat_workgroup_size: 1024
    .name:           _Z14LLGemm1_kernelIN3c104HalfELi4EEvPKT_S4_PS2_i
    .private_segment_fixed_size: 0
    .sgpr_count:     20
    .sgpr_spill_count: 0
    .symbol:         _Z14LLGemm1_kernelIN3c104HalfELi4EEvPKT_S4_PS2_i.kd
    .uniform_work_group_size: 1
    .uses_dynamic_stack: false
    .vgpr_count:     22
    .vgpr_spill_count: 0
    .wavefront_size: 64
  - .agpr_count:     0
    .args:
      - .address_space:  global
        .offset:         0
        .size:           8
        .value_kind:     global_buffer
      - .address_space:  global
        .offset:         8
        .size:           8
        .value_kind:     global_buffer
      - .address_space:  global
        .offset:         16
        .size:           8
        .value_kind:     global_buffer
      - .offset:         24
        .size:           4
        .value_kind:     by_value
      - .offset:         32
        .size:           4
        .value_kind:     hidden_block_count_x
      - .offset:         36
        .size:           4
        .value_kind:     hidden_block_count_y
      - .offset:         40
        .size:           4
        .value_kind:     hidden_block_count_z
      - .offset:         44
        .size:           2
        .value_kind:     hidden_group_size_x
      - .offset:         46
        .size:           2
        .value_kind:     hidden_group_size_y
      - .offset:         48
        .size:           2
        .value_kind:     hidden_group_size_z
      - .offset:         50
        .size:           2
        .value_kind:     hidden_remainder_x
      - .offset:         52
        .size:           2
        .value_kind:     hidden_remainder_y
      - .offset:         54
        .size:           2
        .value_kind:     hidden_remainder_z
      - .offset:         72
        .size:           8
        .value_kind:     hidden_global_offset_x
      - .offset:         80
        .size:           8
        .value_kind:     hidden_global_offset_y
      - .offset:         88
        .size:           8
        .value_kind:     hidden_global_offset_z
      - .offset:         96
        .size:           2
        .value_kind:     hidden_grid_dims
    .group_segment_fixed_size: 2048
    .kernarg_segment_align: 8
    .kernarg_segment_size: 288
    .language:       OpenCL C
    .language_version:
      - 2
      - 0
    .max_flat_workgroup_size: 1024
    .name:           _Z14LLGemm1_kernelIN3c104HalfELi8EEvPKT_S4_PS2_i
    .private_segment_fixed_size: 0
    .sgpr_count:     20
    .sgpr_spill_count: 0
    .symbol:         _Z14LLGemm1_kernelIN3c104HalfELi8EEvPKT_S4_PS2_i.kd
    .uniform_work_group_size: 1
    .uses_dynamic_stack: false
    .vgpr_count:     38
    .vgpr_spill_count: 0
    .wavefront_size: 64
  - .agpr_count:     0
    .args:
      - .address_space:  global
        .offset:         0
        .size:           8
        .value_kind:     global_buffer
      - .address_space:  global
        .offset:         8
        .size:           8
        .value_kind:     global_buffer
      - .address_space:  global
        .offset:         16
        .size:           8
        .value_kind:     global_buffer
      - .offset:         24
        .size:           4
        .value_kind:     by_value
      - .offset:         32
        .size:           4
        .value_kind:     hidden_block_count_x
      - .offset:         36
        .size:           4
        .value_kind:     hidden_block_count_y
      - .offset:         40
        .size:           4
        .value_kind:     hidden_block_count_z
      - .offset:         44
        .size:           2
        .value_kind:     hidden_group_size_x
      - .offset:         46
        .size:           2
        .value_kind:     hidden_group_size_y
      - .offset:         48
        .size:           2
        .value_kind:     hidden_group_size_z
      - .offset:         50
        .size:           2
        .value_kind:     hidden_remainder_x
      - .offset:         52
        .size:           2
        .value_kind:     hidden_remainder_y
      - .offset:         54
        .size:           2
        .value_kind:     hidden_remainder_z
      - .offset:         72
        .size:           8
        .value_kind:     hidden_global_offset_x
      - .offset:         80
        .size:           8
        .value_kind:     hidden_global_offset_y
      - .offset:         88
        .size:           8
        .value_kind:     hidden_global_offset_z
      - .offset:         96
        .size:           2
        .value_kind:     hidden_grid_dims
    .group_segment_fixed_size: 4096
    .kernarg_segment_align: 8
    .kernarg_segment_size: 288
    .language:       OpenCL C
    .language_version:
      - 2
      - 0
    .max_flat_workgroup_size: 1024
    .name:           _Z14LLGemm1_kernelIN3c104HalfELi16EEvPKT_S4_PS2_i
    .private_segment_fixed_size: 0
    .sgpr_count:     20
    .sgpr_spill_count: 0
    .symbol:         _Z14LLGemm1_kernelIN3c104HalfELi16EEvPKT_S4_PS2_i.kd
    .uniform_work_group_size: 1
    .uses_dynamic_stack: false
    .vgpr_count:     72
    .vgpr_spill_count: 0
    .wavefront_size: 64
  - .agpr_count:     0
    .args:
      - .address_space:  global
        .offset:         0
        .size:           8
        .value_kind:     global_buffer
      - .address_space:  global
        .offset:         8
        .size:           8
        .value_kind:     global_buffer
      - .address_space:  global
        .offset:         16
        .size:           8
        .value_kind:     global_buffer
      - .offset:         24
        .size:           4
        .value_kind:     by_value
      - .offset:         32
        .size:           4
        .value_kind:     hidden_block_count_x
      - .offset:         36
        .size:           4
        .value_kind:     hidden_block_count_y
      - .offset:         40
        .size:           4
        .value_kind:     hidden_block_count_z
      - .offset:         44
        .size:           2
        .value_kind:     hidden_group_size_x
      - .offset:         46
        .size:           2
        .value_kind:     hidden_group_size_y
      - .offset:         48
        .size:           2
        .value_kind:     hidden_group_size_z
      - .offset:         50
        .size:           2
        .value_kind:     hidden_remainder_x
      - .offset:         52
        .size:           2
        .value_kind:     hidden_remainder_y
      - .offset:         54
        .size:           2
        .value_kind:     hidden_remainder_z
      - .offset:         72
        .size:           8
        .value_kind:     hidden_global_offset_x
      - .offset:         80
        .size:           8
        .value_kind:     hidden_global_offset_y
      - .offset:         88
        .size:           8
        .value_kind:     hidden_global_offset_z
      - .offset:         96
        .size:           2
        .value_kind:     hidden_grid_dims
    .group_segment_fixed_size: 512
    .kernarg_segment_align: 8
    .kernarg_segment_size: 288
    .language:       OpenCL C
    .language_version:
      - 2
      - 0
    .max_flat_workgroup_size: 1024
    .name:           _Z14LLGemm1_kernelIN3c108BFloat16ELi2EEvPKT_S4_PS2_i
    .private_segment_fixed_size: 0
    .sgpr_count:     18
    .sgpr_spill_count: 0
    .symbol:         _Z14LLGemm1_kernelIN3c108BFloat16ELi2EEvPKT_S4_PS2_i.kd
    .uniform_work_group_size: 1
    .uses_dynamic_stack: false
    .vgpr_count:     20
    .vgpr_spill_count: 0
    .wavefront_size: 64
  - .agpr_count:     0
    .args:
      - .address_space:  global
        .offset:         0
        .size:           8
        .value_kind:     global_buffer
      - .address_space:  global
        .offset:         8
        .size:           8
        .value_kind:     global_buffer
      - .address_space:  global
        .offset:         16
        .size:           8
        .value_kind:     global_buffer
      - .offset:         24
        .size:           4
        .value_kind:     by_value
      - .offset:         32
        .size:           4
        .value_kind:     hidden_block_count_x
      - .offset:         36
        .size:           4
        .value_kind:     hidden_block_count_y
      - .offset:         40
        .size:           4
        .value_kind:     hidden_block_count_z
      - .offset:         44
        .size:           2
        .value_kind:     hidden_group_size_x
      - .offset:         46
        .size:           2
        .value_kind:     hidden_group_size_y
      - .offset:         48
        .size:           2
        .value_kind:     hidden_group_size_z
      - .offset:         50
        .size:           2
        .value_kind:     hidden_remainder_x
      - .offset:         52
        .size:           2
        .value_kind:     hidden_remainder_y
      - .offset:         54
        .size:           2
        .value_kind:     hidden_remainder_z
      - .offset:         72
        .size:           8
        .value_kind:     hidden_global_offset_x
      - .offset:         80
        .size:           8
        .value_kind:     hidden_global_offset_y
      - .offset:         88
        .size:           8
        .value_kind:     hidden_global_offset_z
      - .offset:         96
        .size:           2
        .value_kind:     hidden_grid_dims
    .group_segment_fixed_size: 1024
    .kernarg_segment_align: 8
    .kernarg_segment_size: 288
    .language:       OpenCL C
    .language_version:
      - 2
      - 0
    .max_flat_workgroup_size: 1024
    .name:           _Z14LLGemm1_kernelIN3c108BFloat16ELi4EEvPKT_S4_PS2_i
    .private_segment_fixed_size: 0
    .sgpr_count:     20
    .sgpr_spill_count: 0
    .symbol:         _Z14LLGemm1_kernelIN3c108BFloat16ELi4EEvPKT_S4_PS2_i.kd
    .uniform_work_group_size: 1
    .uses_dynamic_stack: false
    .vgpr_count:     28
    .vgpr_spill_count: 0
    .wavefront_size: 64
  - .agpr_count:     0
    .args:
      - .address_space:  global
        .offset:         0
        .size:           8
        .value_kind:     global_buffer
      - .address_space:  global
        .offset:         8
        .size:           8
        .value_kind:     global_buffer
      - .address_space:  global
        .offset:         16
        .size:           8
        .value_kind:     global_buffer
      - .offset:         24
        .size:           4
        .value_kind:     by_value
      - .offset:         32
        .size:           4
        .value_kind:     hidden_block_count_x
      - .offset:         36
        .size:           4
        .value_kind:     hidden_block_count_y
      - .offset:         40
        .size:           4
        .value_kind:     hidden_block_count_z
      - .offset:         44
        .size:           2
        .value_kind:     hidden_group_size_x
      - .offset:         46
        .size:           2
        .value_kind:     hidden_group_size_y
      - .offset:         48
        .size:           2
        .value_kind:     hidden_group_size_z
      - .offset:         50
        .size:           2
        .value_kind:     hidden_remainder_x
      - .offset:         52
        .size:           2
        .value_kind:     hidden_remainder_y
      - .offset:         54
        .size:           2
        .value_kind:     hidden_remainder_z
      - .offset:         72
        .size:           8
        .value_kind:     hidden_global_offset_x
      - .offset:         80
        .size:           8
        .value_kind:     hidden_global_offset_y
      - .offset:         88
        .size:           8
        .value_kind:     hidden_global_offset_z
      - .offset:         96
        .size:           2
        .value_kind:     hidden_grid_dims
    .group_segment_fixed_size: 2048
    .kernarg_segment_align: 8
    .kernarg_segment_size: 288
    .language:       OpenCL C
    .language_version:
      - 2
      - 0
    .max_flat_workgroup_size: 1024
    .name:           _Z14LLGemm1_kernelIN3c108BFloat16ELi8EEvPKT_S4_PS2_i
    .private_segment_fixed_size: 0
    .sgpr_count:     20
    .sgpr_spill_count: 0
    .symbol:         _Z14LLGemm1_kernelIN3c108BFloat16ELi8EEvPKT_S4_PS2_i.kd
    .uniform_work_group_size: 1
    .uses_dynamic_stack: false
    .vgpr_count:     44
    .vgpr_spill_count: 0
    .wavefront_size: 64
  - .agpr_count:     0
    .args:
      - .address_space:  global
        .offset:         0
        .size:           8
        .value_kind:     global_buffer
      - .address_space:  global
        .offset:         8
        .size:           8
        .value_kind:     global_buffer
      - .address_space:  global
        .offset:         16
        .size:           8
        .value_kind:     global_buffer
      - .offset:         24
        .size:           4
        .value_kind:     by_value
      - .offset:         32
        .size:           4
        .value_kind:     hidden_block_count_x
      - .offset:         36
        .size:           4
        .value_kind:     hidden_block_count_y
      - .offset:         40
        .size:           4
        .value_kind:     hidden_block_count_z
      - .offset:         44
        .size:           2
        .value_kind:     hidden_group_size_x
      - .offset:         46
        .size:           2
        .value_kind:     hidden_group_size_y
      - .offset:         48
        .size:           2
        .value_kind:     hidden_group_size_z
      - .offset:         50
        .size:           2
        .value_kind:     hidden_remainder_x
      - .offset:         52
        .size:           2
        .value_kind:     hidden_remainder_y
      - .offset:         54
        .size:           2
        .value_kind:     hidden_remainder_z
      - .offset:         72
        .size:           8
        .value_kind:     hidden_global_offset_x
      - .offset:         80
        .size:           8
        .value_kind:     hidden_global_offset_y
      - .offset:         88
        .size:           8
        .value_kind:     hidden_global_offset_z
      - .offset:         96
        .size:           2
        .value_kind:     hidden_grid_dims
    .group_segment_fixed_size: 4096
    .kernarg_segment_align: 8
    .kernarg_segment_size: 288
    .language:       OpenCL C
    .language_version:
      - 2
      - 0
    .max_flat_workgroup_size: 1024
    .name:           _Z14LLGemm1_kernelIN3c108BFloat16ELi16EEvPKT_S4_PS2_i
    .private_segment_fixed_size: 0
    .sgpr_count:     20
    .sgpr_spill_count: 0
    .symbol:         _Z14LLGemm1_kernelIN3c108BFloat16ELi16EEvPKT_S4_PS2_i.kd
    .uniform_work_group_size: 1
    .uses_dynamic_stack: false
    .vgpr_count:     76
    .vgpr_spill_count: 0
    .wavefront_size: 64
  - .agpr_count:     0
    .args:
      - .offset:         0
        .size:           4
        .value_kind:     by_value
      - .offset:         4
        .size:           4
        .value_kind:     by_value
      - .address_space:  global
        .offset:         8
        .size:           8
        .value_kind:     global_buffer
      - .actual_access:  read_only
        .address_space:  global
        .offset:         16
        .size:           8
        .value_kind:     global_buffer
      - .address_space:  global
        .offset:         24
        .size:           8
        .value_kind:     global_buffer
      - .offset:         32
        .size:           4
        .value_kind:     by_value
      - .offset:         36
        .size:           4
        .value_kind:     by_value
    .group_segment_fixed_size: 65536
    .kernarg_segment_align: 8
    .kernarg_segment_size: 40
    .language:       OpenCL C
    .language_version:
      - 2
      - 0
    .max_flat_workgroup_size: 1024
    .name:           _Z16wvSplitK_hf_sml_I6__halfLi64ELi2ELi16ELi8ELi2ELi1EEviiPKT_S3_PS1_ii
    .private_segment_fixed_size: 0
    .sgpr_count:     27
    .sgpr_spill_count: 0
    .symbol:         _Z16wvSplitK_hf_sml_I6__halfLi64ELi2ELi16ELi8ELi2ELi1EEviiPKT_S3_PS1_ii.kd
    .uniform_work_group_size: 1
    .uses_dynamic_stack: false
    .vgpr_count:     40
    .vgpr_spill_count: 0
    .wavefront_size: 64
  - .agpr_count:     0
    .args:
      - .offset:         0
        .size:           4
        .value_kind:     by_value
      - .offset:         4
        .size:           4
        .value_kind:     by_value
      - .address_space:  global
        .offset:         8
        .size:           8
        .value_kind:     global_buffer
      - .actual_access:  read_only
        .address_space:  global
        .offset:         16
        .size:           8
        .value_kind:     global_buffer
      - .address_space:  global
        .offset:         24
        .size:           8
        .value_kind:     global_buffer
      - .offset:         32
        .size:           4
        .value_kind:     by_value
      - .offset:         36
        .size:           4
        .value_kind:     by_value
    .group_segment_fixed_size: 65536
    .kernarg_segment_align: 8
    .kernarg_segment_size: 40
    .language:       OpenCL C
    .language_version:
      - 2
      - 0
    .max_flat_workgroup_size: 1024
    .name:           _Z12wvSplitK_hf_I6__halfLi64ELi2ELi16ELi8ELi2ELi1EEviiPKT_S3_PS1_ii
    .private_segment_fixed_size: 0
    .sgpr_count:     33
    .sgpr_spill_count: 0
    .symbol:         _Z12wvSplitK_hf_I6__halfLi64ELi2ELi16ELi8ELi2ELi1EEviiPKT_S3_PS1_ii.kd
    .uniform_work_group_size: 1
    .uses_dynamic_stack: false
    .vgpr_count:     44
    .vgpr_spill_count: 0
    .wavefront_size: 64
  - .agpr_count:     0
    .args:
      - .offset:         0
        .size:           4
        .value_kind:     by_value
      - .offset:         4
        .size:           4
        .value_kind:     by_value
      - .address_space:  global
        .offset:         8
        .size:           8
        .value_kind:     global_buffer
      - .actual_access:  read_only
        .address_space:  global
        .offset:         16
        .size:           8
        .value_kind:     global_buffer
      - .address_space:  global
        .offset:         24
        .size:           8
        .value_kind:     global_buffer
      - .offset:         32
        .size:           4
        .value_kind:     by_value
      - .offset:         36
        .size:           4
        .value_kind:     by_value
    .group_segment_fixed_size: 65536
    .kernarg_segment_align: 8
    .kernarg_segment_size: 40
    .language:       OpenCL C
    .language_version:
      - 2
      - 0
    .max_flat_workgroup_size: 1024
    .name:           _Z16wvSplitK_hf_big_I6__halfLi64ELi2ELi16ELi8ELi2ELi1EEviiPKT_S3_PS1_ii
    .private_segment_fixed_size: 0
    .sgpr_count:     46
    .sgpr_spill_count: 0
    .symbol:         _Z16wvSplitK_hf_big_I6__halfLi64ELi2ELi16ELi8ELi2ELi1EEviiPKT_S3_PS1_ii.kd
    .uniform_work_group_size: 1
    .uses_dynamic_stack: false
    .vgpr_count:     42
    .vgpr_spill_count: 0
    .wavefront_size: 64
  - .agpr_count:     0
    .args:
      - .offset:         0
        .size:           4
        .value_kind:     by_value
      - .offset:         4
        .size:           4
        .value_kind:     by_value
      - .address_space:  global
        .offset:         8
        .size:           8
        .value_kind:     global_buffer
      - .actual_access:  read_only
        .address_space:  global
        .offset:         16
        .size:           8
        .value_kind:     global_buffer
      - .address_space:  global
        .offset:         24
        .size:           8
        .value_kind:     global_buffer
      - .offset:         32
        .size:           4
        .value_kind:     by_value
      - .offset:         36
        .size:           4
        .value_kind:     by_value
    .group_segment_fixed_size: 65536
    .kernarg_segment_align: 8
    .kernarg_segment_size: 40
    .language:       OpenCL C
    .language_version:
      - 2
      - 0
    .max_flat_workgroup_size: 1024
    .name:           _Z16wvSplitK_hf_sml_I6__halfLi64ELi2ELi16ELi8ELi2ELi2EEviiPKT_S3_PS1_ii
    .private_segment_fixed_size: 0
    .sgpr_count:     28
    .sgpr_spill_count: 0
    .symbol:         _Z16wvSplitK_hf_sml_I6__halfLi64ELi2ELi16ELi8ELi2ELi2EEviiPKT_S3_PS1_ii.kd
    .uniform_work_group_size: 1
    .uses_dynamic_stack: false
    .vgpr_count:     48
    .vgpr_spill_count: 0
    .wavefront_size: 64
  - .agpr_count:     0
    .args:
      - .offset:         0
        .size:           4
        .value_kind:     by_value
      - .offset:         4
        .size:           4
        .value_kind:     by_value
      - .address_space:  global
        .offset:         8
        .size:           8
        .value_kind:     global_buffer
      - .actual_access:  read_only
        .address_space:  global
        .offset:         16
        .size:           8
        .value_kind:     global_buffer
      - .address_space:  global
        .offset:         24
        .size:           8
        .value_kind:     global_buffer
      - .offset:         32
        .size:           4
        .value_kind:     by_value
      - .offset:         36
        .size:           4
        .value_kind:     by_value
    .group_segment_fixed_size: 65536
    .kernarg_segment_align: 8
    .kernarg_segment_size: 40
    .language:       OpenCL C
    .language_version:
      - 2
      - 0
    .max_flat_workgroup_size: 1024
    .name:           _Z12wvSplitK_hf_I6__halfLi64ELi2ELi16ELi8ELi2ELi2EEviiPKT_S3_PS1_ii
    .private_segment_fixed_size: 0
    .sgpr_count:     34
    .sgpr_spill_count: 0
    .symbol:         _Z12wvSplitK_hf_I6__halfLi64ELi2ELi16ELi8ELi2ELi2EEviiPKT_S3_PS1_ii.kd
    .uniform_work_group_size: 1
    .uses_dynamic_stack: false
    .vgpr_count:     54
    .vgpr_spill_count: 0
    .wavefront_size: 64
  - .agpr_count:     0
    .args:
      - .offset:         0
        .size:           4
        .value_kind:     by_value
      - .offset:         4
        .size:           4
        .value_kind:     by_value
      - .address_space:  global
        .offset:         8
        .size:           8
        .value_kind:     global_buffer
      - .actual_access:  read_only
        .address_space:  global
        .offset:         16
        .size:           8
        .value_kind:     global_buffer
      - .address_space:  global
        .offset:         24
        .size:           8
        .value_kind:     global_buffer
      - .offset:         32
        .size:           4
        .value_kind:     by_value
      - .offset:         36
        .size:           4
        .value_kind:     by_value
    .group_segment_fixed_size: 65536
    .kernarg_segment_align: 8
    .kernarg_segment_size: 40
    .language:       OpenCL C
    .language_version:
      - 2
      - 0
    .max_flat_workgroup_size: 1024
    .name:           _Z16wvSplitK_hf_big_I6__halfLi64ELi2ELi16ELi8ELi2ELi2EEviiPKT_S3_PS1_ii
    .private_segment_fixed_size: 0
    .sgpr_count:     46
    .sgpr_spill_count: 0
    .symbol:         _Z16wvSplitK_hf_big_I6__halfLi64ELi2ELi16ELi8ELi2ELi2EEviiPKT_S3_PS1_ii.kd
    .uniform_work_group_size: 1
    .uses_dynamic_stack: false
    .vgpr_count:     58
    .vgpr_spill_count: 0
    .wavefront_size: 64
  - .agpr_count:     0
    .args:
      - .offset:         0
        .size:           4
        .value_kind:     by_value
      - .offset:         4
        .size:           4
        .value_kind:     by_value
      - .address_space:  global
        .offset:         8
        .size:           8
        .value_kind:     global_buffer
      - .actual_access:  read_only
        .address_space:  global
        .offset:         16
        .size:           8
        .value_kind:     global_buffer
      - .address_space:  global
        .offset:         24
        .size:           8
        .value_kind:     global_buffer
      - .offset:         32
        .size:           4
        .value_kind:     by_value
      - .offset:         36
        .size:           4
        .value_kind:     by_value
    .group_segment_fixed_size: 65536
    .kernarg_segment_align: 8
    .kernarg_segment_size: 40
    .language:       OpenCL C
    .language_version:
      - 2
      - 0
    .max_flat_workgroup_size: 1024
    .name:           _Z16wvSplitK_hf_sml_I6__halfLi64ELi4ELi16ELi8ELi1ELi3EEviiPKT_S3_PS1_ii
    .private_segment_fixed_size: 0
    .sgpr_count:     25
    .sgpr_spill_count: 0
    .symbol:         _Z16wvSplitK_hf_sml_I6__halfLi64ELi4ELi16ELi8ELi1ELi3EEviiPKT_S3_PS1_ii.kd
    .uniform_work_group_size: 1
    .uses_dynamic_stack: false
    .vgpr_count:     47
    .vgpr_spill_count: 0
    .wavefront_size: 64
  - .agpr_count:     0
    .args:
      - .offset:         0
        .size:           4
        .value_kind:     by_value
      - .offset:         4
        .size:           4
        .value_kind:     by_value
      - .address_space:  global
        .offset:         8
        .size:           8
        .value_kind:     global_buffer
      - .actual_access:  read_only
        .address_space:  global
        .offset:         16
        .size:           8
        .value_kind:     global_buffer
      - .address_space:  global
        .offset:         24
        .size:           8
        .value_kind:     global_buffer
      - .offset:         32
        .size:           4
        .value_kind:     by_value
      - .offset:         36
        .size:           4
        .value_kind:     by_value
    .group_segment_fixed_size: 65536
    .kernarg_segment_align: 8
    .kernarg_segment_size: 40
    .language:       OpenCL C
    .language_version:
      - 2
      - 0
    .max_flat_workgroup_size: 1024
    .name:           _Z12wvSplitK_hf_I6__halfLi64ELi7ELi16ELi8ELi1ELi3EEviiPKT_S3_PS1_ii
    .private_segment_fixed_size: 0
    .sgpr_count:     42
    .sgpr_spill_count: 0
    .symbol:         _Z12wvSplitK_hf_I6__halfLi64ELi7ELi16ELi8ELi1ELi3EEviiPKT_S3_PS1_ii.kd
    .uniform_work_group_size: 1
    .uses_dynamic_stack: false
    .vgpr_count:     75
    .vgpr_spill_count: 0
    .wavefront_size: 64
  - .agpr_count:     0
    .args:
      - .offset:         0
        .size:           4
        .value_kind:     by_value
      - .offset:         4
        .size:           4
        .value_kind:     by_value
      - .address_space:  global
        .offset:         8
        .size:           8
        .value_kind:     global_buffer
      - .actual_access:  read_only
        .address_space:  global
        .offset:         16
        .size:           8
        .value_kind:     global_buffer
      - .address_space:  global
        .offset:         24
        .size:           8
        .value_kind:     global_buffer
      - .offset:         32
        .size:           4
        .value_kind:     by_value
      - .offset:         36
        .size:           4
        .value_kind:     by_value
    .group_segment_fixed_size: 65536
    .kernarg_segment_align: 8
    .kernarg_segment_size: 40
    .language:       OpenCL C
    .language_version:
      - 2
      - 0
    .max_flat_workgroup_size: 1024
    .name:           _Z16wvSplitK_hf_big_I6__halfLi64ELi7ELi16ELi8ELi1ELi3EEviiPKT_S3_PS1_ii
    .private_segment_fixed_size: 0
    .sgpr_count:     52
    .sgpr_spill_count: 0
    .symbol:         _Z16wvSplitK_hf_big_I6__halfLi64ELi7ELi16ELi8ELi1ELi3EEviiPKT_S3_PS1_ii.kd
    .uniform_work_group_size: 1
    .uses_dynamic_stack: false
    .vgpr_count:     79
    .vgpr_spill_count: 0
    .wavefront_size: 64
  - .agpr_count:     0
    .args:
      - .offset:         0
        .size:           4
        .value_kind:     by_value
      - .offset:         4
        .size:           4
        .value_kind:     by_value
      - .address_space:  global
        .offset:         8
        .size:           8
        .value_kind:     global_buffer
      - .actual_access:  read_only
        .address_space:  global
        .offset:         16
        .size:           8
        .value_kind:     global_buffer
      - .address_space:  global
        .offset:         24
        .size:           8
        .value_kind:     global_buffer
      - .offset:         32
        .size:           4
        .value_kind:     by_value
      - .offset:         36
        .size:           4
        .value_kind:     by_value
    .group_segment_fixed_size: 65536
    .kernarg_segment_align: 8
    .kernarg_segment_size: 40
    .language:       OpenCL C
    .language_version:
      - 2
      - 0
    .max_flat_workgroup_size: 1024
    .name:           _Z16wvSplitK_hf_sml_I6__halfLi64ELi4ELi16ELi8ELi1ELi4EEviiPKT_S3_PS1_ii
    .private_segment_fixed_size: 0
    .sgpr_count:     26
    .sgpr_spill_count: 0
    .symbol:         _Z16wvSplitK_hf_sml_I6__halfLi64ELi4ELi16ELi8ELi1ELi4EEviiPKT_S3_PS1_ii.kd
    .uniform_work_group_size: 1
    .uses_dynamic_stack: false
    .vgpr_count:     55
    .vgpr_spill_count: 0
    .wavefront_size: 64
  - .agpr_count:     0
    .args:
      - .offset:         0
        .size:           4
        .value_kind:     by_value
      - .offset:         4
        .size:           4
        .value_kind:     by_value
      - .address_space:  global
        .offset:         8
        .size:           8
        .value_kind:     global_buffer
      - .actual_access:  read_only
        .address_space:  global
        .offset:         16
        .size:           8
        .value_kind:     global_buffer
      - .address_space:  global
        .offset:         24
        .size:           8
        .value_kind:     global_buffer
      - .offset:         32
        .size:           4
        .value_kind:     by_value
      - .offset:         36
        .size:           4
        .value_kind:     by_value
    .group_segment_fixed_size: 65536
    .kernarg_segment_align: 8
    .kernarg_segment_size: 40
    .language:       OpenCL C
    .language_version:
      - 2
      - 0
    .max_flat_workgroup_size: 1024
    .name:           _Z12wvSplitK_hf_I6__halfLi64ELi7ELi16ELi8ELi1ELi4EEviiPKT_S3_PS1_ii
    .private_segment_fixed_size: 0
    .sgpr_count:     45
    .sgpr_spill_count: 0
    .symbol:         _Z12wvSplitK_hf_I6__halfLi64ELi7ELi16ELi8ELi1ELi4EEviiPKT_S3_PS1_ii.kd
    .uniform_work_group_size: 1
    .uses_dynamic_stack: false
    .vgpr_count:     91
    .vgpr_spill_count: 0
    .wavefront_size: 64
  - .agpr_count:     0
    .args:
      - .offset:         0
        .size:           4
        .value_kind:     by_value
      - .offset:         4
        .size:           4
        .value_kind:     by_value
      - .address_space:  global
        .offset:         8
        .size:           8
        .value_kind:     global_buffer
      - .actual_access:  read_only
        .address_space:  global
        .offset:         16
        .size:           8
        .value_kind:     global_buffer
      - .address_space:  global
        .offset:         24
        .size:           8
        .value_kind:     global_buffer
      - .offset:         32
        .size:           4
        .value_kind:     by_value
      - .offset:         36
        .size:           4
        .value_kind:     by_value
    .group_segment_fixed_size: 65536
    .kernarg_segment_align: 8
    .kernarg_segment_size: 40
    .language:       OpenCL C
    .language_version:
      - 2
      - 0
    .max_flat_workgroup_size: 1024
    .name:           _Z16wvSplitK_hf_big_I6__halfLi64ELi7ELi16ELi8ELi1ELi4EEviiPKT_S3_PS1_ii
    .private_segment_fixed_size: 0
    .sgpr_count:     52
    .sgpr_spill_count: 0
    .symbol:         _Z16wvSplitK_hf_big_I6__halfLi64ELi7ELi16ELi8ELi1ELi4EEviiPKT_S3_PS1_ii.kd
    .uniform_work_group_size: 1
    .uses_dynamic_stack: false
    .vgpr_count:     92
    .vgpr_spill_count: 0
    .wavefront_size: 64
  - .agpr_count:     0
    .args:
      - .offset:         0
        .size:           4
        .value_kind:     by_value
      - .offset:         4
        .size:           4
        .value_kind:     by_value
      - .address_space:  global
        .offset:         8
        .size:           8
        .value_kind:     global_buffer
      - .actual_access:  read_only
        .address_space:  global
        .offset:         16
        .size:           8
        .value_kind:     global_buffer
      - .address_space:  global
        .offset:         24
        .size:           8
        .value_kind:     global_buffer
      - .offset:         32
        .size:           4
        .value_kind:     by_value
      - .offset:         36
        .size:           4
        .value_kind:     by_value
    .group_segment_fixed_size: 65536
    .kernarg_segment_align: 8
    .kernarg_segment_size: 40
    .language:       OpenCL C
    .language_version:
      - 2
      - 0
    .max_flat_workgroup_size: 1024
    .name:           _Z16wvSplitK_hf_sml_I14__hip_bfloat16Li64ELi2ELi16ELi8ELi2ELi1EEviiPKT_S3_PS1_ii
    .private_segment_fixed_size: 0
    .sgpr_count:     29
    .sgpr_spill_count: 0
    .symbol:         _Z16wvSplitK_hf_sml_I14__hip_bfloat16Li64ELi2ELi16ELi8ELi2ELi1EEviiPKT_S3_PS1_ii.kd
    .uniform_work_group_size: 1
    .uses_dynamic_stack: false
    .vgpr_count:     54
    .vgpr_spill_count: 0
    .wavefront_size: 64
  - .agpr_count:     0
    .args:
      - .offset:         0
        .size:           4
        .value_kind:     by_value
      - .offset:         4
        .size:           4
        .value_kind:     by_value
      - .address_space:  global
        .offset:         8
        .size:           8
        .value_kind:     global_buffer
      - .actual_access:  read_only
        .address_space:  global
        .offset:         16
        .size:           8
        .value_kind:     global_buffer
      - .address_space:  global
        .offset:         24
        .size:           8
        .value_kind:     global_buffer
      - .offset:         32
        .size:           4
        .value_kind:     by_value
      - .offset:         36
        .size:           4
        .value_kind:     by_value
    .group_segment_fixed_size: 65536
    .kernarg_segment_align: 8
    .kernarg_segment_size: 40
    .language:       OpenCL C
    .language_version:
      - 2
      - 0
    .max_flat_workgroup_size: 1024
    .name:           _Z12wvSplitK_hf_I14__hip_bfloat16Li64ELi2ELi16ELi8ELi2ELi1EEviiPKT_S3_PS1_ii
    .private_segment_fixed_size: 0
    .sgpr_count:     34
    .sgpr_spill_count: 0
    .symbol:         _Z12wvSplitK_hf_I14__hip_bfloat16Li64ELi2ELi16ELi8ELi2ELi1EEviiPKT_S3_PS1_ii.kd
    .uniform_work_group_size: 1
    .uses_dynamic_stack: false
    .vgpr_count:     56
    .vgpr_spill_count: 0
    .wavefront_size: 64
  - .agpr_count:     0
    .args:
      - .offset:         0
        .size:           4
        .value_kind:     by_value
      - .offset:         4
        .size:           4
        .value_kind:     by_value
      - .address_space:  global
        .offset:         8
        .size:           8
        .value_kind:     global_buffer
      - .actual_access:  read_only
        .address_space:  global
        .offset:         16
        .size:           8
        .value_kind:     global_buffer
      - .address_space:  global
        .offset:         24
        .size:           8
        .value_kind:     global_buffer
      - .offset:         32
        .size:           4
        .value_kind:     by_value
      - .offset:         36
        .size:           4
        .value_kind:     by_value
    .group_segment_fixed_size: 65536
    .kernarg_segment_align: 8
    .kernarg_segment_size: 40
    .language:       OpenCL C
    .language_version:
      - 2
      - 0
    .max_flat_workgroup_size: 1024
    .name:           _Z16wvSplitK_hf_big_I14__hip_bfloat16Li64ELi2ELi16ELi8ELi2ELi1EEviiPKT_S3_PS1_ii
    .private_segment_fixed_size: 0
    .sgpr_count:     48
    .sgpr_spill_count: 0
    .symbol:         _Z16wvSplitK_hf_big_I14__hip_bfloat16Li64ELi2ELi16ELi8ELi2ELi1EEviiPKT_S3_PS1_ii.kd
    .uniform_work_group_size: 1
    .uses_dynamic_stack: false
    .vgpr_count:     54
    .vgpr_spill_count: 0
    .wavefront_size: 64
  - .agpr_count:     0
    .args:
      - .offset:         0
        .size:           4
        .value_kind:     by_value
      - .offset:         4
        .size:           4
        .value_kind:     by_value
      - .address_space:  global
        .offset:         8
        .size:           8
        .value_kind:     global_buffer
      - .actual_access:  read_only
        .address_space:  global
        .offset:         16
        .size:           8
        .value_kind:     global_buffer
      - .address_space:  global
        .offset:         24
        .size:           8
        .value_kind:     global_buffer
      - .offset:         32
        .size:           4
        .value_kind:     by_value
      - .offset:         36
        .size:           4
        .value_kind:     by_value
    .group_segment_fixed_size: 65536
    .kernarg_segment_align: 8
    .kernarg_segment_size: 40
    .language:       OpenCL C
    .language_version:
      - 2
      - 0
    .max_flat_workgroup_size: 1024
    .name:           _Z16wvSplitK_hf_sml_I14__hip_bfloat16Li64ELi2ELi16ELi8ELi2ELi2EEviiPKT_S3_PS1_ii
    .private_segment_fixed_size: 0
    .sgpr_count:     30
    .sgpr_spill_count: 0
    .symbol:         _Z16wvSplitK_hf_sml_I14__hip_bfloat16Li64ELi2ELi16ELi8ELi2ELi2EEviiPKT_S3_PS1_ii.kd
    .uniform_work_group_size: 1
    .uses_dynamic_stack: false
    .vgpr_count:     80
    .vgpr_spill_count: 0
    .wavefront_size: 64
  - .agpr_count:     0
    .args:
      - .offset:         0
        .size:           4
        .value_kind:     by_value
      - .offset:         4
        .size:           4
        .value_kind:     by_value
      - .address_space:  global
        .offset:         8
        .size:           8
        .value_kind:     global_buffer
      - .actual_access:  read_only
        .address_space:  global
        .offset:         16
        .size:           8
        .value_kind:     global_buffer
      - .address_space:  global
        .offset:         24
        .size:           8
        .value_kind:     global_buffer
      - .offset:         32
        .size:           4
        .value_kind:     by_value
      - .offset:         36
        .size:           4
        .value_kind:     by_value
    .group_segment_fixed_size: 65536
    .kernarg_segment_align: 8
    .kernarg_segment_size: 40
    .language:       OpenCL C
    .language_version:
      - 2
      - 0
    .max_flat_workgroup_size: 1024
    .name:           _Z12wvSplitK_hf_I14__hip_bfloat16Li64ELi2ELi16ELi8ELi2ELi2EEviiPKT_S3_PS1_ii
    .private_segment_fixed_size: 0
    .sgpr_count:     35
    .sgpr_spill_count: 0
    .symbol:         _Z12wvSplitK_hf_I14__hip_bfloat16Li64ELi2ELi16ELi8ELi2ELi2EEviiPKT_S3_PS1_ii.kd
    .uniform_work_group_size: 1
    .uses_dynamic_stack: false
    .vgpr_count:     84
    .vgpr_spill_count: 0
    .wavefront_size: 64
  - .agpr_count:     0
    .args:
      - .offset:         0
        .size:           4
        .value_kind:     by_value
      - .offset:         4
        .size:           4
        .value_kind:     by_value
      - .address_space:  global
        .offset:         8
        .size:           8
        .value_kind:     global_buffer
      - .actual_access:  read_only
        .address_space:  global
        .offset:         16
        .size:           8
        .value_kind:     global_buffer
      - .address_space:  global
        .offset:         24
        .size:           8
        .value_kind:     global_buffer
      - .offset:         32
        .size:           4
        .value_kind:     by_value
      - .offset:         36
        .size:           4
        .value_kind:     by_value
    .group_segment_fixed_size: 65536
    .kernarg_segment_align: 8
    .kernarg_segment_size: 40
    .language:       OpenCL C
    .language_version:
      - 2
      - 0
    .max_flat_workgroup_size: 1024
    .name:           _Z16wvSplitK_hf_big_I14__hip_bfloat16Li64ELi2ELi16ELi8ELi2ELi2EEviiPKT_S3_PS1_ii
    .private_segment_fixed_size: 0
    .sgpr_count:     48
    .sgpr_spill_count: 0
    .symbol:         _Z16wvSplitK_hf_big_I14__hip_bfloat16Li64ELi2ELi16ELi8ELi2ELi2EEviiPKT_S3_PS1_ii.kd
    .uniform_work_group_size: 1
    .uses_dynamic_stack: false
    .vgpr_count:     82
    .vgpr_spill_count: 0
    .wavefront_size: 64
  - .agpr_count:     0
    .args:
      - .offset:         0
        .size:           4
        .value_kind:     by_value
      - .offset:         4
        .size:           4
        .value_kind:     by_value
      - .address_space:  global
        .offset:         8
        .size:           8
        .value_kind:     global_buffer
      - .actual_access:  read_only
        .address_space:  global
        .offset:         16
        .size:           8
        .value_kind:     global_buffer
      - .address_space:  global
        .offset:         24
        .size:           8
        .value_kind:     global_buffer
      - .offset:         32
        .size:           4
        .value_kind:     by_value
      - .offset:         36
        .size:           4
        .value_kind:     by_value
    .group_segment_fixed_size: 65536
    .kernarg_segment_align: 8
    .kernarg_segment_size: 40
    .language:       OpenCL C
    .language_version:
      - 2
      - 0
    .max_flat_workgroup_size: 1024
    .name:           _Z16wvSplitK_hf_sml_I14__hip_bfloat16Li64ELi4ELi16ELi8ELi1ELi3EEviiPKT_S3_PS1_ii
    .private_segment_fixed_size: 0
    .sgpr_count:     28
    .sgpr_spill_count: 0
    .symbol:         _Z16wvSplitK_hf_sml_I14__hip_bfloat16Li64ELi4ELi16ELi8ELi1ELi3EEviiPKT_S3_PS1_ii.kd
    .uniform_work_group_size: 1
    .uses_dynamic_stack: false
    .vgpr_count:     84
    .vgpr_spill_count: 0
    .wavefront_size: 64
  - .agpr_count:     0
    .args:
      - .offset:         0
        .size:           4
        .value_kind:     by_value
      - .offset:         4
        .size:           4
        .value_kind:     by_value
      - .address_space:  global
        .offset:         8
        .size:           8
        .value_kind:     global_buffer
      - .actual_access:  read_only
        .address_space:  global
        .offset:         16
        .size:           8
        .value_kind:     global_buffer
      - .address_space:  global
        .offset:         24
        .size:           8
        .value_kind:     global_buffer
      - .offset:         32
        .size:           4
        .value_kind:     by_value
      - .offset:         36
        .size:           4
        .value_kind:     by_value
    .group_segment_fixed_size: 65536
    .kernarg_segment_align: 8
    .kernarg_segment_size: 40
    .language:       OpenCL C
    .language_version:
      - 2
      - 0
    .max_flat_workgroup_size: 1024
    .name:           _Z12wvSplitK_hf_I14__hip_bfloat16Li64ELi7ELi16ELi8ELi1ELi3EEviiPKT_S3_PS1_ii
    .private_segment_fixed_size: 116
    .sgpr_count:     52
    .sgpr_spill_count: 0
    .symbol:         _Z12wvSplitK_hf_I14__hip_bfloat16Li64ELi7ELi16ELi8ELi1ELi3EEviiPKT_S3_PS1_ii.kd
    .uniform_work_group_size: 1
    .uses_dynamic_stack: false
    .vgpr_count:     128
    .vgpr_spill_count: 79
    .wavefront_size: 64
  - .agpr_count:     0
    .args:
      - .offset:         0
        .size:           4
        .value_kind:     by_value
      - .offset:         4
        .size:           4
        .value_kind:     by_value
      - .address_space:  global
        .offset:         8
        .size:           8
        .value_kind:     global_buffer
      - .actual_access:  read_only
        .address_space:  global
        .offset:         16
        .size:           8
        .value_kind:     global_buffer
      - .address_space:  global
        .offset:         24
        .size:           8
        .value_kind:     global_buffer
      - .offset:         32
        .size:           4
        .value_kind:     by_value
      - .offset:         36
        .size:           4
        .value_kind:     by_value
    .group_segment_fixed_size: 65536
    .kernarg_segment_align: 8
    .kernarg_segment_size: 40
    .language:       OpenCL C
    .language_version:
      - 2
      - 0
    .max_flat_workgroup_size: 1024
    .name:           _Z16wvSplitK_hf_big_I14__hip_bfloat16Li64ELi7ELi16ELi8ELi1ELi3EEviiPKT_S3_PS1_ii
    .private_segment_fixed_size: 0
    .sgpr_count:     56
    .sgpr_spill_count: 0
    .symbol:         _Z16wvSplitK_hf_big_I14__hip_bfloat16Li64ELi7ELi16ELi8ELi1ELi3EEviiPKT_S3_PS1_ii.kd
    .uniform_work_group_size: 1
    .uses_dynamic_stack: false
    .vgpr_count:     122
    .vgpr_spill_count: 0
    .wavefront_size: 64
  - .agpr_count:     0
    .args:
      - .offset:         0
        .size:           4
        .value_kind:     by_value
      - .offset:         4
        .size:           4
        .value_kind:     by_value
      - .address_space:  global
        .offset:         8
        .size:           8
        .value_kind:     global_buffer
      - .actual_access:  read_only
        .address_space:  global
        .offset:         16
        .size:           8
        .value_kind:     global_buffer
      - .address_space:  global
        .offset:         24
        .size:           8
        .value_kind:     global_buffer
      - .offset:         32
        .size:           4
        .value_kind:     by_value
      - .offset:         36
        .size:           4
        .value_kind:     by_value
    .group_segment_fixed_size: 65536
    .kernarg_segment_align: 8
    .kernarg_segment_size: 40
    .language:       OpenCL C
    .language_version:
      - 2
      - 0
    .max_flat_workgroup_size: 1024
    .name:           _Z16wvSplitK_hf_sml_I14__hip_bfloat16Li64ELi4ELi16ELi8ELi1ELi4EEviiPKT_S3_PS1_ii
    .private_segment_fixed_size: 0
    .sgpr_count:     29
    .sgpr_spill_count: 0
    .symbol:         _Z16wvSplitK_hf_sml_I14__hip_bfloat16Li64ELi4ELi16ELi8ELi1ELi4EEviiPKT_S3_PS1_ii.kd
    .uniform_work_group_size: 1
    .uses_dynamic_stack: false
    .vgpr_count:     87
    .vgpr_spill_count: 0
    .wavefront_size: 64
  - .agpr_count:     0
    .args:
      - .offset:         0
        .size:           4
        .value_kind:     by_value
      - .offset:         4
        .size:           4
        .value_kind:     by_value
      - .address_space:  global
        .offset:         8
        .size:           8
        .value_kind:     global_buffer
      - .actual_access:  read_only
        .address_space:  global
        .offset:         16
        .size:           8
        .value_kind:     global_buffer
      - .address_space:  global
        .offset:         24
        .size:           8
        .value_kind:     global_buffer
      - .offset:         32
        .size:           4
        .value_kind:     by_value
      - .offset:         36
        .size:           4
        .value_kind:     by_value
    .group_segment_fixed_size: 65536
    .kernarg_segment_align: 8
    .kernarg_segment_size: 40
    .language:       OpenCL C
    .language_version:
      - 2
      - 0
    .max_flat_workgroup_size: 1024
    .name:           _Z12wvSplitK_hf_I14__hip_bfloat16Li64ELi7ELi16ELi8ELi1ELi4EEviiPKT_S3_PS1_ii
    .private_segment_fixed_size: 192
    .sgpr_count:     52
    .sgpr_spill_count: 0
    .symbol:         _Z12wvSplitK_hf_I14__hip_bfloat16Li64ELi7ELi16ELi8ELi1ELi4EEviiPKT_S3_PS1_ii.kd
    .uniform_work_group_size: 1
    .uses_dynamic_stack: false
    .vgpr_count:     128
    .vgpr_spill_count: 131
    .wavefront_size: 64
  - .agpr_count:     0
    .args:
      - .offset:         0
        .size:           4
        .value_kind:     by_value
      - .offset:         4
        .size:           4
        .value_kind:     by_value
      - .address_space:  global
        .offset:         8
        .size:           8
        .value_kind:     global_buffer
      - .actual_access:  read_only
        .address_space:  global
        .offset:         16
        .size:           8
        .value_kind:     global_buffer
      - .address_space:  global
        .offset:         24
        .size:           8
        .value_kind:     global_buffer
      - .offset:         32
        .size:           4
        .value_kind:     by_value
      - .offset:         36
        .size:           4
        .value_kind:     by_value
    .group_segment_fixed_size: 65536
    .kernarg_segment_align: 8
    .kernarg_segment_size: 40
    .language:       OpenCL C
    .language_version:
      - 2
      - 0
    .max_flat_workgroup_size: 1024
    .name:           _Z16wvSplitK_hf_big_I14__hip_bfloat16Li64ELi7ELi16ELi8ELi1ELi4EEviiPKT_S3_PS1_ii
    .private_segment_fixed_size: 28
    .sgpr_count:     60
    .sgpr_spill_count: 0
    .symbol:         _Z16wvSplitK_hf_big_I14__hip_bfloat16Li64ELi7ELi16ELi8ELi1ELi4EEviiPKT_S3_PS1_ii.kd
    .uniform_work_group_size: 1
    .uses_dynamic_stack: false
    .vgpr_count:     128
    .vgpr_spill_count: 6
    .wavefront_size: 64
  - .agpr_count:     0
    .args:
      - .offset:         0
        .size:           4
        .value_kind:     by_value
      - .offset:         4
        .size:           4
        .value_kind:     by_value
      - .offset:         8
        .size:           4
        .value_kind:     by_value
      - .address_space:  global
        .offset:         16
        .size:           8
        .value_kind:     global_buffer
      - .actual_access:  read_only
        .address_space:  global
        .offset:         24
        .size:           8
        .value_kind:     global_buffer
      - .address_space:  global
        .offset:         32
        .size:           8
        .value_kind:     global_buffer
      - .actual_access:  read_only
        .address_space:  global
        .offset:         40
        .size:           8
        .value_kind:     global_buffer
      - .actual_access:  read_only
        .address_space:  global
        .offset:         48
        .size:           8
        .value_kind:     global_buffer
      - .offset:         56
        .size:           4
        .value_kind:     by_value
      - .offset:         60
        .size:           4
        .value_kind:     by_value
      - .offset:         64
        .size:           4
        .value_kind:     hidden_block_count_x
      - .offset:         68
        .size:           4
        .value_kind:     hidden_block_count_y
      - .offset:         72
        .size:           4
        .value_kind:     hidden_block_count_z
      - .offset:         76
        .size:           2
        .value_kind:     hidden_group_size_x
      - .offset:         78
        .size:           2
        .value_kind:     hidden_group_size_y
      - .offset:         80
        .size:           2
        .value_kind:     hidden_group_size_z
      - .offset:         82
        .size:           2
        .value_kind:     hidden_remainder_x
      - .offset:         84
        .size:           2
        .value_kind:     hidden_remainder_y
      - .offset:         86
        .size:           2
        .value_kind:     hidden_remainder_z
      - .offset:         104
        .size:           8
        .value_kind:     hidden_global_offset_x
      - .offset:         112
        .size:           8
        .value_kind:     hidden_global_offset_y
      - .offset:         120
        .size:           8
        .value_kind:     hidden_global_offset_z
      - .offset:         128
        .size:           2
        .value_kind:     hidden_grid_dims
      - .offset:         144
        .size:           8
        .value_kind:     hidden_hostcall_buffer
    .group_segment_fixed_size: 0
    .kernarg_segment_align: 8
    .kernarg_segment_size: 320
    .language:       OpenCL C
    .language_version:
      - 2
      - 0
    .max_flat_workgroup_size: 1024
    .name:           _Z17wvSplitKQ_hf_sml_I6__halfN3c1013Float8_e4m3fnELi64ELi2ELi16ELi16ELi2ELi1EEviiiPKT0_S5_PT_PKfS9_ii
    .private_segment_fixed_size: 64
    .sgpr_count:     40
    .sgpr_spill_count: 0
    .symbol:         _Z17wvSplitKQ_hf_sml_I6__halfN3c1013Float8_e4m3fnELi64ELi2ELi16ELi16ELi2ELi1EEviiiPKT0_S5_PT_PKfS9_ii.kd
    .uniform_work_group_size: 1
    .uses_dynamic_stack: false
    .vgpr_count:     49
    .vgpr_spill_count: 0
    .wavefront_size: 64
  - .agpr_count:     0
    .args:
      - .offset:         0
        .size:           4
        .value_kind:     by_value
      - .offset:         4
        .size:           4
        .value_kind:     by_value
      - .offset:         8
        .size:           4
        .value_kind:     by_value
      - .address_space:  global
        .offset:         16
        .size:           8
        .value_kind:     global_buffer
      - .actual_access:  read_only
        .address_space:  global
        .offset:         24
        .size:           8
        .value_kind:     global_buffer
      - .address_space:  global
        .offset:         32
        .size:           8
        .value_kind:     global_buffer
      - .actual_access:  read_only
        .address_space:  global
        .offset:         40
        .size:           8
        .value_kind:     global_buffer
      - .actual_access:  read_only
        .address_space:  global
        .offset:         48
        .size:           8
        .value_kind:     global_buffer
      - .offset:         56
        .size:           4
        .value_kind:     by_value
      - .offset:         60
        .size:           4
        .value_kind:     by_value
      - .offset:         64
        .size:           4
        .value_kind:     hidden_block_count_x
      - .offset:         68
        .size:           4
        .value_kind:     hidden_block_count_y
      - .offset:         72
        .size:           4
        .value_kind:     hidden_block_count_z
      - .offset:         76
        .size:           2
        .value_kind:     hidden_group_size_x
      - .offset:         78
        .size:           2
        .value_kind:     hidden_group_size_y
      - .offset:         80
        .size:           2
        .value_kind:     hidden_group_size_z
      - .offset:         82
        .size:           2
        .value_kind:     hidden_remainder_x
      - .offset:         84
        .size:           2
        .value_kind:     hidden_remainder_y
      - .offset:         86
        .size:           2
        .value_kind:     hidden_remainder_z
      - .offset:         104
        .size:           8
        .value_kind:     hidden_global_offset_x
      - .offset:         112
        .size:           8
        .value_kind:     hidden_global_offset_y
      - .offset:         120
        .size:           8
        .value_kind:     hidden_global_offset_z
      - .offset:         128
        .size:           2
        .value_kind:     hidden_grid_dims
      - .offset:         144
        .size:           8
        .value_kind:     hidden_hostcall_buffer
    .group_segment_fixed_size: 0
    .kernarg_segment_align: 8
    .kernarg_segment_size: 320
    .language:       OpenCL C
    .language_version:
      - 2
      - 0
    .max_flat_workgroup_size: 1024
    .name:           _Z13wvSplitKQ_hf_I6__halfN3c1013Float8_e4m3fnELi64ELi2ELi16ELi16ELi2ELi1EEviiiPKT0_S5_PT_PKfS9_ii
    .private_segment_fixed_size: 64
    .sgpr_count:     40
    .sgpr_spill_count: 0
    .symbol:         _Z13wvSplitKQ_hf_I6__halfN3c1013Float8_e4m3fnELi64ELi2ELi16ELi16ELi2ELi1EEviiiPKT0_S5_PT_PKfS9_ii.kd
    .uniform_work_group_size: 1
    .uses_dynamic_stack: false
    .vgpr_count:     49
    .vgpr_spill_count: 0
    .wavefront_size: 64
  - .agpr_count:     0
    .args:
      - .offset:         0
        .size:           4
        .value_kind:     by_value
      - .offset:         4
        .size:           4
        .value_kind:     by_value
      - .offset:         8
        .size:           4
        .value_kind:     by_value
      - .address_space:  global
        .offset:         16
        .size:           8
        .value_kind:     global_buffer
      - .actual_access:  read_only
        .address_space:  global
        .offset:         24
        .size:           8
        .value_kind:     global_buffer
      - .address_space:  global
        .offset:         32
        .size:           8
        .value_kind:     global_buffer
      - .actual_access:  read_only
        .address_space:  global
        .offset:         40
        .size:           8
        .value_kind:     global_buffer
      - .actual_access:  read_only
        .address_space:  global
        .offset:         48
        .size:           8
        .value_kind:     global_buffer
      - .offset:         56
        .size:           4
        .value_kind:     by_value
      - .offset:         60
        .size:           4
        .value_kind:     by_value
      - .offset:         64
        .size:           4
        .value_kind:     hidden_block_count_x
      - .offset:         68
        .size:           4
        .value_kind:     hidden_block_count_y
      - .offset:         72
        .size:           4
        .value_kind:     hidden_block_count_z
      - .offset:         76
        .size:           2
        .value_kind:     hidden_group_size_x
      - .offset:         78
        .size:           2
        .value_kind:     hidden_group_size_y
      - .offset:         80
        .size:           2
        .value_kind:     hidden_group_size_z
      - .offset:         82
        .size:           2
        .value_kind:     hidden_remainder_x
      - .offset:         84
        .size:           2
        .value_kind:     hidden_remainder_y
      - .offset:         86
        .size:           2
        .value_kind:     hidden_remainder_z
      - .offset:         104
        .size:           8
        .value_kind:     hidden_global_offset_x
      - .offset:         112
        .size:           8
        .value_kind:     hidden_global_offset_y
      - .offset:         120
        .size:           8
        .value_kind:     hidden_global_offset_z
      - .offset:         128
        .size:           2
        .value_kind:     hidden_grid_dims
      - .offset:         144
        .size:           8
        .value_kind:     hidden_hostcall_buffer
    .group_segment_fixed_size: 0
    .kernarg_segment_align: 8
    .kernarg_segment_size: 320
    .language:       OpenCL C
    .language_version:
      - 2
      - 0
    .max_flat_workgroup_size: 1024
    .name:           _Z17wvSplitKQ_hf_sml_I6__halfN3c1013Float8_e4m3fnELi64ELi2ELi16ELi16ELi2ELi2EEviiiPKT0_S5_PT_PKfS9_ii
    .private_segment_fixed_size: 64
    .sgpr_count:     40
    .sgpr_spill_count: 0
    .symbol:         _Z17wvSplitKQ_hf_sml_I6__halfN3c1013Float8_e4m3fnELi64ELi2ELi16ELi16ELi2ELi2EEviiiPKT0_S5_PT_PKfS9_ii.kd
    .uniform_work_group_size: 1
    .uses_dynamic_stack: false
    .vgpr_count:     49
    .vgpr_spill_count: 0
    .wavefront_size: 64
  - .agpr_count:     0
    .args:
      - .offset:         0
        .size:           4
        .value_kind:     by_value
      - .offset:         4
        .size:           4
        .value_kind:     by_value
      - .offset:         8
        .size:           4
        .value_kind:     by_value
      - .address_space:  global
        .offset:         16
        .size:           8
        .value_kind:     global_buffer
      - .actual_access:  read_only
        .address_space:  global
        .offset:         24
        .size:           8
        .value_kind:     global_buffer
      - .address_space:  global
        .offset:         32
        .size:           8
        .value_kind:     global_buffer
      - .actual_access:  read_only
        .address_space:  global
        .offset:         40
        .size:           8
        .value_kind:     global_buffer
      - .actual_access:  read_only
        .address_space:  global
        .offset:         48
        .size:           8
        .value_kind:     global_buffer
      - .offset:         56
        .size:           4
        .value_kind:     by_value
      - .offset:         60
        .size:           4
        .value_kind:     by_value
      - .offset:         64
        .size:           4
        .value_kind:     hidden_block_count_x
      - .offset:         68
        .size:           4
        .value_kind:     hidden_block_count_y
      - .offset:         72
        .size:           4
        .value_kind:     hidden_block_count_z
      - .offset:         76
        .size:           2
        .value_kind:     hidden_group_size_x
      - .offset:         78
        .size:           2
        .value_kind:     hidden_group_size_y
      - .offset:         80
        .size:           2
        .value_kind:     hidden_group_size_z
      - .offset:         82
        .size:           2
        .value_kind:     hidden_remainder_x
      - .offset:         84
        .size:           2
        .value_kind:     hidden_remainder_y
      - .offset:         86
        .size:           2
        .value_kind:     hidden_remainder_z
      - .offset:         104
        .size:           8
        .value_kind:     hidden_global_offset_x
      - .offset:         112
        .size:           8
        .value_kind:     hidden_global_offset_y
      - .offset:         120
        .size:           8
        .value_kind:     hidden_global_offset_z
      - .offset:         128
        .size:           2
        .value_kind:     hidden_grid_dims
      - .offset:         144
        .size:           8
        .value_kind:     hidden_hostcall_buffer
    .group_segment_fixed_size: 0
    .kernarg_segment_align: 8
    .kernarg_segment_size: 320
    .language:       OpenCL C
    .language_version:
      - 2
      - 0
    .max_flat_workgroup_size: 1024
    .name:           _Z13wvSplitKQ_hf_I6__halfN3c1013Float8_e4m3fnELi64ELi2ELi16ELi16ELi2ELi2EEviiiPKT0_S5_PT_PKfS9_ii
    .private_segment_fixed_size: 64
    .sgpr_count:     40
    .sgpr_spill_count: 0
    .symbol:         _Z13wvSplitKQ_hf_I6__halfN3c1013Float8_e4m3fnELi64ELi2ELi16ELi16ELi2ELi2EEviiiPKT0_S5_PT_PKfS9_ii.kd
    .uniform_work_group_size: 1
    .uses_dynamic_stack: false
    .vgpr_count:     49
    .vgpr_spill_count: 0
    .wavefront_size: 64
  - .agpr_count:     0
    .args:
      - .offset:         0
        .size:           4
        .value_kind:     by_value
      - .offset:         4
        .size:           4
        .value_kind:     by_value
      - .offset:         8
        .size:           4
        .value_kind:     by_value
      - .address_space:  global
        .offset:         16
        .size:           8
        .value_kind:     global_buffer
      - .actual_access:  read_only
        .address_space:  global
        .offset:         24
        .size:           8
        .value_kind:     global_buffer
      - .address_space:  global
        .offset:         32
        .size:           8
        .value_kind:     global_buffer
      - .actual_access:  read_only
        .address_space:  global
        .offset:         40
        .size:           8
        .value_kind:     global_buffer
      - .actual_access:  read_only
        .address_space:  global
        .offset:         48
        .size:           8
        .value_kind:     global_buffer
      - .offset:         56
        .size:           4
        .value_kind:     by_value
      - .offset:         60
        .size:           4
        .value_kind:     by_value
      - .offset:         64
        .size:           4
        .value_kind:     hidden_block_count_x
      - .offset:         68
        .size:           4
        .value_kind:     hidden_block_count_y
      - .offset:         72
        .size:           4
        .value_kind:     hidden_block_count_z
      - .offset:         76
        .size:           2
        .value_kind:     hidden_group_size_x
      - .offset:         78
        .size:           2
        .value_kind:     hidden_group_size_y
      - .offset:         80
        .size:           2
        .value_kind:     hidden_group_size_z
      - .offset:         82
        .size:           2
        .value_kind:     hidden_remainder_x
      - .offset:         84
        .size:           2
        .value_kind:     hidden_remainder_y
      - .offset:         86
        .size:           2
        .value_kind:     hidden_remainder_z
      - .offset:         104
        .size:           8
        .value_kind:     hidden_global_offset_x
      - .offset:         112
        .size:           8
        .value_kind:     hidden_global_offset_y
      - .offset:         120
        .size:           8
        .value_kind:     hidden_global_offset_z
      - .offset:         128
        .size:           2
        .value_kind:     hidden_grid_dims
      - .offset:         144
        .size:           8
        .value_kind:     hidden_hostcall_buffer
    .group_segment_fixed_size: 0
    .kernarg_segment_align: 8
    .kernarg_segment_size: 320
    .language:       OpenCL C
    .language_version:
      - 2
      - 0
    .max_flat_workgroup_size: 1024
    .name:           _Z17wvSplitKQ_hf_sml_I6__halfN3c1013Float8_e4m3fnELi64ELi4ELi16ELi16ELi1ELi3EEviiiPKT0_S5_PT_PKfS9_ii
    .private_segment_fixed_size: 64
    .sgpr_count:     40
    .sgpr_spill_count: 0
    .symbol:         _Z17wvSplitKQ_hf_sml_I6__halfN3c1013Float8_e4m3fnELi64ELi4ELi16ELi16ELi1ELi3EEviiiPKT0_S5_PT_PKfS9_ii.kd
    .uniform_work_group_size: 1
    .uses_dynamic_stack: false
    .vgpr_count:     49
    .vgpr_spill_count: 0
    .wavefront_size: 64
  - .agpr_count:     0
    .args:
      - .offset:         0
        .size:           4
        .value_kind:     by_value
      - .offset:         4
        .size:           4
        .value_kind:     by_value
      - .offset:         8
        .size:           4
        .value_kind:     by_value
      - .address_space:  global
        .offset:         16
        .size:           8
        .value_kind:     global_buffer
      - .actual_access:  read_only
        .address_space:  global
        .offset:         24
        .size:           8
        .value_kind:     global_buffer
      - .address_space:  global
        .offset:         32
        .size:           8
        .value_kind:     global_buffer
      - .actual_access:  read_only
        .address_space:  global
        .offset:         40
        .size:           8
        .value_kind:     global_buffer
      - .actual_access:  read_only
        .address_space:  global
        .offset:         48
        .size:           8
        .value_kind:     global_buffer
      - .offset:         56
        .size:           4
        .value_kind:     by_value
      - .offset:         60
        .size:           4
        .value_kind:     by_value
      - .offset:         64
        .size:           4
        .value_kind:     hidden_block_count_x
      - .offset:         68
        .size:           4
        .value_kind:     hidden_block_count_y
      - .offset:         72
        .size:           4
        .value_kind:     hidden_block_count_z
      - .offset:         76
        .size:           2
        .value_kind:     hidden_group_size_x
      - .offset:         78
        .size:           2
        .value_kind:     hidden_group_size_y
      - .offset:         80
        .size:           2
        .value_kind:     hidden_group_size_z
      - .offset:         82
        .size:           2
        .value_kind:     hidden_remainder_x
      - .offset:         84
        .size:           2
        .value_kind:     hidden_remainder_y
      - .offset:         86
        .size:           2
        .value_kind:     hidden_remainder_z
      - .offset:         104
        .size:           8
        .value_kind:     hidden_global_offset_x
      - .offset:         112
        .size:           8
        .value_kind:     hidden_global_offset_y
      - .offset:         120
        .size:           8
        .value_kind:     hidden_global_offset_z
      - .offset:         128
        .size:           2
        .value_kind:     hidden_grid_dims
      - .offset:         144
        .size:           8
        .value_kind:     hidden_hostcall_buffer
    .group_segment_fixed_size: 0
    .kernarg_segment_align: 8
    .kernarg_segment_size: 320
    .language:       OpenCL C
    .language_version:
      - 2
      - 0
    .max_flat_workgroup_size: 1024
    .name:           _Z13wvSplitKQ_hf_I6__halfN3c1013Float8_e4m3fnELi64ELi7ELi16ELi16ELi1ELi3EEviiiPKT0_S5_PT_PKfS9_ii
    .private_segment_fixed_size: 64
    .sgpr_count:     40
    .sgpr_spill_count: 0
    .symbol:         _Z13wvSplitKQ_hf_I6__halfN3c1013Float8_e4m3fnELi64ELi7ELi16ELi16ELi1ELi3EEviiiPKT0_S5_PT_PKfS9_ii.kd
    .uniform_work_group_size: 1
    .uses_dynamic_stack: false
    .vgpr_count:     49
    .vgpr_spill_count: 0
    .wavefront_size: 64
  - .agpr_count:     0
    .args:
      - .offset:         0
        .size:           4
        .value_kind:     by_value
      - .offset:         4
        .size:           4
        .value_kind:     by_value
      - .offset:         8
        .size:           4
        .value_kind:     by_value
      - .address_space:  global
        .offset:         16
        .size:           8
        .value_kind:     global_buffer
      - .actual_access:  read_only
        .address_space:  global
        .offset:         24
        .size:           8
        .value_kind:     global_buffer
      - .address_space:  global
        .offset:         32
        .size:           8
        .value_kind:     global_buffer
      - .actual_access:  read_only
        .address_space:  global
        .offset:         40
        .size:           8
        .value_kind:     global_buffer
      - .actual_access:  read_only
        .address_space:  global
        .offset:         48
        .size:           8
        .value_kind:     global_buffer
      - .offset:         56
        .size:           4
        .value_kind:     by_value
      - .offset:         60
        .size:           4
        .value_kind:     by_value
      - .offset:         64
        .size:           4
        .value_kind:     hidden_block_count_x
      - .offset:         68
        .size:           4
        .value_kind:     hidden_block_count_y
      - .offset:         72
        .size:           4
        .value_kind:     hidden_block_count_z
      - .offset:         76
        .size:           2
        .value_kind:     hidden_group_size_x
      - .offset:         78
        .size:           2
        .value_kind:     hidden_group_size_y
      - .offset:         80
        .size:           2
        .value_kind:     hidden_group_size_z
      - .offset:         82
        .size:           2
        .value_kind:     hidden_remainder_x
      - .offset:         84
        .size:           2
        .value_kind:     hidden_remainder_y
      - .offset:         86
        .size:           2
        .value_kind:     hidden_remainder_z
      - .offset:         104
        .size:           8
        .value_kind:     hidden_global_offset_x
      - .offset:         112
        .size:           8
        .value_kind:     hidden_global_offset_y
      - .offset:         120
        .size:           8
        .value_kind:     hidden_global_offset_z
      - .offset:         128
        .size:           2
        .value_kind:     hidden_grid_dims
      - .offset:         144
        .size:           8
        .value_kind:     hidden_hostcall_buffer
    .group_segment_fixed_size: 0
    .kernarg_segment_align: 8
    .kernarg_segment_size: 320
    .language:       OpenCL C
    .language_version:
      - 2
      - 0
    .max_flat_workgroup_size: 1024
    .name:           _Z17wvSplitKQ_hf_sml_I6__halfN3c1013Float8_e4m3fnELi64ELi4ELi16ELi16ELi1ELi4EEviiiPKT0_S5_PT_PKfS9_ii
    .private_segment_fixed_size: 64
    .sgpr_count:     40
    .sgpr_spill_count: 0
    .symbol:         _Z17wvSplitKQ_hf_sml_I6__halfN3c1013Float8_e4m3fnELi64ELi4ELi16ELi16ELi1ELi4EEviiiPKT0_S5_PT_PKfS9_ii.kd
    .uniform_work_group_size: 1
    .uses_dynamic_stack: false
    .vgpr_count:     49
    .vgpr_spill_count: 0
    .wavefront_size: 64
  - .agpr_count:     0
    .args:
      - .offset:         0
        .size:           4
        .value_kind:     by_value
      - .offset:         4
        .size:           4
        .value_kind:     by_value
      - .offset:         8
        .size:           4
        .value_kind:     by_value
      - .address_space:  global
        .offset:         16
        .size:           8
        .value_kind:     global_buffer
      - .actual_access:  read_only
        .address_space:  global
        .offset:         24
        .size:           8
        .value_kind:     global_buffer
      - .address_space:  global
        .offset:         32
        .size:           8
        .value_kind:     global_buffer
      - .actual_access:  read_only
        .address_space:  global
        .offset:         40
        .size:           8
        .value_kind:     global_buffer
      - .actual_access:  read_only
        .address_space:  global
        .offset:         48
        .size:           8
        .value_kind:     global_buffer
      - .offset:         56
        .size:           4
        .value_kind:     by_value
      - .offset:         60
        .size:           4
        .value_kind:     by_value
      - .offset:         64
        .size:           4
        .value_kind:     hidden_block_count_x
      - .offset:         68
        .size:           4
        .value_kind:     hidden_block_count_y
      - .offset:         72
        .size:           4
        .value_kind:     hidden_block_count_z
      - .offset:         76
        .size:           2
        .value_kind:     hidden_group_size_x
      - .offset:         78
        .size:           2
        .value_kind:     hidden_group_size_y
      - .offset:         80
        .size:           2
        .value_kind:     hidden_group_size_z
      - .offset:         82
        .size:           2
        .value_kind:     hidden_remainder_x
      - .offset:         84
        .size:           2
        .value_kind:     hidden_remainder_y
      - .offset:         86
        .size:           2
        .value_kind:     hidden_remainder_z
      - .offset:         104
        .size:           8
        .value_kind:     hidden_global_offset_x
      - .offset:         112
        .size:           8
        .value_kind:     hidden_global_offset_y
      - .offset:         120
        .size:           8
        .value_kind:     hidden_global_offset_z
      - .offset:         128
        .size:           2
        .value_kind:     hidden_grid_dims
      - .offset:         144
        .size:           8
        .value_kind:     hidden_hostcall_buffer
    .group_segment_fixed_size: 0
    .kernarg_segment_align: 8
    .kernarg_segment_size: 320
    .language:       OpenCL C
    .language_version:
      - 2
      - 0
    .max_flat_workgroup_size: 1024
    .name:           _Z13wvSplitKQ_hf_I6__halfN3c1013Float8_e4m3fnELi64ELi7ELi16ELi16ELi1ELi4EEviiiPKT0_S5_PT_PKfS9_ii
    .private_segment_fixed_size: 64
    .sgpr_count:     40
    .sgpr_spill_count: 0
    .symbol:         _Z13wvSplitKQ_hf_I6__halfN3c1013Float8_e4m3fnELi64ELi7ELi16ELi16ELi1ELi4EEviiiPKT0_S5_PT_PKfS9_ii.kd
    .uniform_work_group_size: 1
    .uses_dynamic_stack: false
    .vgpr_count:     49
    .vgpr_spill_count: 0
    .wavefront_size: 64
  - .agpr_count:     0
    .args:
      - .offset:         0
        .size:           4
        .value_kind:     by_value
      - .offset:         4
        .size:           4
        .value_kind:     by_value
      - .offset:         8
        .size:           4
        .value_kind:     by_value
      - .address_space:  global
        .offset:         16
        .size:           8
        .value_kind:     global_buffer
      - .actual_access:  read_only
        .address_space:  global
        .offset:         24
        .size:           8
        .value_kind:     global_buffer
      - .address_space:  global
        .offset:         32
        .size:           8
        .value_kind:     global_buffer
      - .actual_access:  read_only
        .address_space:  global
        .offset:         40
        .size:           8
        .value_kind:     global_buffer
      - .actual_access:  read_only
        .address_space:  global
        .offset:         48
        .size:           8
        .value_kind:     global_buffer
      - .offset:         56
        .size:           4
        .value_kind:     by_value
      - .offset:         60
        .size:           4
        .value_kind:     by_value
      - .offset:         64
        .size:           4
        .value_kind:     hidden_block_count_x
      - .offset:         68
        .size:           4
        .value_kind:     hidden_block_count_y
      - .offset:         72
        .size:           4
        .value_kind:     hidden_block_count_z
      - .offset:         76
        .size:           2
        .value_kind:     hidden_group_size_x
      - .offset:         78
        .size:           2
        .value_kind:     hidden_group_size_y
      - .offset:         80
        .size:           2
        .value_kind:     hidden_group_size_z
      - .offset:         82
        .size:           2
        .value_kind:     hidden_remainder_x
      - .offset:         84
        .size:           2
        .value_kind:     hidden_remainder_y
      - .offset:         86
        .size:           2
        .value_kind:     hidden_remainder_z
      - .offset:         104
        .size:           8
        .value_kind:     hidden_global_offset_x
      - .offset:         112
        .size:           8
        .value_kind:     hidden_global_offset_y
      - .offset:         120
        .size:           8
        .value_kind:     hidden_global_offset_z
      - .offset:         128
        .size:           2
        .value_kind:     hidden_grid_dims
      - .offset:         144
        .size:           8
        .value_kind:     hidden_hostcall_buffer
    .group_segment_fixed_size: 0
    .kernarg_segment_align: 8
    .kernarg_segment_size: 320
    .language:       OpenCL C
    .language_version:
      - 2
      - 0
    .max_flat_workgroup_size: 1024
    .name:           _Z17wvSplitKQ_hf_sml_I6__halfN3c1015Float8_e4m3fnuzELi64ELi2ELi16ELi16ELi2ELi1EEviiiPKT0_S5_PT_PKfS9_ii
    .private_segment_fixed_size: 64
    .sgpr_count:     40
    .sgpr_spill_count: 0
    .symbol:         _Z17wvSplitKQ_hf_sml_I6__halfN3c1015Float8_e4m3fnuzELi64ELi2ELi16ELi16ELi2ELi1EEviiiPKT0_S5_PT_PKfS9_ii.kd
    .uniform_work_group_size: 1
    .uses_dynamic_stack: false
    .vgpr_count:     49
    .vgpr_spill_count: 0
    .wavefront_size: 64
  - .agpr_count:     0
    .args:
      - .offset:         0
        .size:           4
        .value_kind:     by_value
      - .offset:         4
        .size:           4
        .value_kind:     by_value
      - .offset:         8
        .size:           4
        .value_kind:     by_value
      - .address_space:  global
        .offset:         16
        .size:           8
        .value_kind:     global_buffer
      - .actual_access:  read_only
        .address_space:  global
        .offset:         24
        .size:           8
        .value_kind:     global_buffer
      - .address_space:  global
        .offset:         32
        .size:           8
        .value_kind:     global_buffer
      - .actual_access:  read_only
        .address_space:  global
        .offset:         40
        .size:           8
        .value_kind:     global_buffer
      - .actual_access:  read_only
        .address_space:  global
        .offset:         48
        .size:           8
        .value_kind:     global_buffer
      - .offset:         56
        .size:           4
        .value_kind:     by_value
      - .offset:         60
        .size:           4
        .value_kind:     by_value
      - .offset:         64
        .size:           4
        .value_kind:     hidden_block_count_x
      - .offset:         68
        .size:           4
        .value_kind:     hidden_block_count_y
      - .offset:         72
        .size:           4
        .value_kind:     hidden_block_count_z
      - .offset:         76
        .size:           2
        .value_kind:     hidden_group_size_x
      - .offset:         78
        .size:           2
        .value_kind:     hidden_group_size_y
      - .offset:         80
        .size:           2
        .value_kind:     hidden_group_size_z
      - .offset:         82
        .size:           2
        .value_kind:     hidden_remainder_x
      - .offset:         84
        .size:           2
        .value_kind:     hidden_remainder_y
      - .offset:         86
        .size:           2
        .value_kind:     hidden_remainder_z
      - .offset:         104
        .size:           8
        .value_kind:     hidden_global_offset_x
      - .offset:         112
        .size:           8
        .value_kind:     hidden_global_offset_y
      - .offset:         120
        .size:           8
        .value_kind:     hidden_global_offset_z
      - .offset:         128
        .size:           2
        .value_kind:     hidden_grid_dims
      - .offset:         144
        .size:           8
        .value_kind:     hidden_hostcall_buffer
    .group_segment_fixed_size: 0
    .kernarg_segment_align: 8
    .kernarg_segment_size: 320
    .language:       OpenCL C
    .language_version:
      - 2
      - 0
    .max_flat_workgroup_size: 1024
    .name:           _Z13wvSplitKQ_hf_I6__halfN3c1015Float8_e4m3fnuzELi64ELi2ELi16ELi16ELi2ELi1EEviiiPKT0_S5_PT_PKfS9_ii
    .private_segment_fixed_size: 64
    .sgpr_count:     40
    .sgpr_spill_count: 0
    .symbol:         _Z13wvSplitKQ_hf_I6__halfN3c1015Float8_e4m3fnuzELi64ELi2ELi16ELi16ELi2ELi1EEviiiPKT0_S5_PT_PKfS9_ii.kd
    .uniform_work_group_size: 1
    .uses_dynamic_stack: false
    .vgpr_count:     49
    .vgpr_spill_count: 0
    .wavefront_size: 64
  - .agpr_count:     0
    .args:
      - .offset:         0
        .size:           4
        .value_kind:     by_value
      - .offset:         4
        .size:           4
        .value_kind:     by_value
      - .offset:         8
        .size:           4
        .value_kind:     by_value
      - .address_space:  global
        .offset:         16
        .size:           8
        .value_kind:     global_buffer
      - .actual_access:  read_only
        .address_space:  global
        .offset:         24
        .size:           8
        .value_kind:     global_buffer
      - .address_space:  global
        .offset:         32
        .size:           8
        .value_kind:     global_buffer
      - .actual_access:  read_only
        .address_space:  global
        .offset:         40
        .size:           8
        .value_kind:     global_buffer
      - .actual_access:  read_only
        .address_space:  global
        .offset:         48
        .size:           8
        .value_kind:     global_buffer
      - .offset:         56
        .size:           4
        .value_kind:     by_value
      - .offset:         60
        .size:           4
        .value_kind:     by_value
      - .offset:         64
        .size:           4
        .value_kind:     hidden_block_count_x
      - .offset:         68
        .size:           4
        .value_kind:     hidden_block_count_y
      - .offset:         72
        .size:           4
        .value_kind:     hidden_block_count_z
      - .offset:         76
        .size:           2
        .value_kind:     hidden_group_size_x
      - .offset:         78
        .size:           2
        .value_kind:     hidden_group_size_y
      - .offset:         80
        .size:           2
        .value_kind:     hidden_group_size_z
      - .offset:         82
        .size:           2
        .value_kind:     hidden_remainder_x
      - .offset:         84
        .size:           2
        .value_kind:     hidden_remainder_y
      - .offset:         86
        .size:           2
        .value_kind:     hidden_remainder_z
      - .offset:         104
        .size:           8
        .value_kind:     hidden_global_offset_x
      - .offset:         112
        .size:           8
        .value_kind:     hidden_global_offset_y
      - .offset:         120
        .size:           8
        .value_kind:     hidden_global_offset_z
      - .offset:         128
        .size:           2
        .value_kind:     hidden_grid_dims
      - .offset:         144
        .size:           8
        .value_kind:     hidden_hostcall_buffer
    .group_segment_fixed_size: 0
    .kernarg_segment_align: 8
    .kernarg_segment_size: 320
    .language:       OpenCL C
    .language_version:
      - 2
      - 0
    .max_flat_workgroup_size: 1024
    .name:           _Z17wvSplitKQ_hf_sml_I6__halfN3c1015Float8_e4m3fnuzELi64ELi2ELi16ELi16ELi2ELi2EEviiiPKT0_S5_PT_PKfS9_ii
    .private_segment_fixed_size: 64
    .sgpr_count:     40
    .sgpr_spill_count: 0
    .symbol:         _Z17wvSplitKQ_hf_sml_I6__halfN3c1015Float8_e4m3fnuzELi64ELi2ELi16ELi16ELi2ELi2EEviiiPKT0_S5_PT_PKfS9_ii.kd
    .uniform_work_group_size: 1
    .uses_dynamic_stack: false
    .vgpr_count:     49
    .vgpr_spill_count: 0
    .wavefront_size: 64
  - .agpr_count:     0
    .args:
      - .offset:         0
        .size:           4
        .value_kind:     by_value
      - .offset:         4
        .size:           4
        .value_kind:     by_value
      - .offset:         8
        .size:           4
        .value_kind:     by_value
      - .address_space:  global
        .offset:         16
        .size:           8
        .value_kind:     global_buffer
      - .actual_access:  read_only
        .address_space:  global
        .offset:         24
        .size:           8
        .value_kind:     global_buffer
      - .address_space:  global
        .offset:         32
        .size:           8
        .value_kind:     global_buffer
      - .actual_access:  read_only
        .address_space:  global
        .offset:         40
        .size:           8
        .value_kind:     global_buffer
      - .actual_access:  read_only
        .address_space:  global
        .offset:         48
        .size:           8
        .value_kind:     global_buffer
      - .offset:         56
        .size:           4
        .value_kind:     by_value
      - .offset:         60
        .size:           4
        .value_kind:     by_value
      - .offset:         64
        .size:           4
        .value_kind:     hidden_block_count_x
      - .offset:         68
        .size:           4
        .value_kind:     hidden_block_count_y
      - .offset:         72
        .size:           4
        .value_kind:     hidden_block_count_z
      - .offset:         76
        .size:           2
        .value_kind:     hidden_group_size_x
      - .offset:         78
        .size:           2
        .value_kind:     hidden_group_size_y
      - .offset:         80
        .size:           2
        .value_kind:     hidden_group_size_z
      - .offset:         82
        .size:           2
        .value_kind:     hidden_remainder_x
      - .offset:         84
        .size:           2
        .value_kind:     hidden_remainder_y
      - .offset:         86
        .size:           2
        .value_kind:     hidden_remainder_z
      - .offset:         104
        .size:           8
        .value_kind:     hidden_global_offset_x
      - .offset:         112
        .size:           8
        .value_kind:     hidden_global_offset_y
      - .offset:         120
        .size:           8
        .value_kind:     hidden_global_offset_z
      - .offset:         128
        .size:           2
        .value_kind:     hidden_grid_dims
      - .offset:         144
        .size:           8
        .value_kind:     hidden_hostcall_buffer
    .group_segment_fixed_size: 0
    .kernarg_segment_align: 8
    .kernarg_segment_size: 320
    .language:       OpenCL C
    .language_version:
      - 2
      - 0
    .max_flat_workgroup_size: 1024
    .name:           _Z13wvSplitKQ_hf_I6__halfN3c1015Float8_e4m3fnuzELi64ELi2ELi16ELi16ELi2ELi2EEviiiPKT0_S5_PT_PKfS9_ii
    .private_segment_fixed_size: 64
    .sgpr_count:     40
    .sgpr_spill_count: 0
    .symbol:         _Z13wvSplitKQ_hf_I6__halfN3c1015Float8_e4m3fnuzELi64ELi2ELi16ELi16ELi2ELi2EEviiiPKT0_S5_PT_PKfS9_ii.kd
    .uniform_work_group_size: 1
    .uses_dynamic_stack: false
    .vgpr_count:     49
    .vgpr_spill_count: 0
    .wavefront_size: 64
  - .agpr_count:     0
    .args:
      - .offset:         0
        .size:           4
        .value_kind:     by_value
      - .offset:         4
        .size:           4
        .value_kind:     by_value
      - .offset:         8
        .size:           4
        .value_kind:     by_value
      - .address_space:  global
        .offset:         16
        .size:           8
        .value_kind:     global_buffer
      - .actual_access:  read_only
        .address_space:  global
        .offset:         24
        .size:           8
        .value_kind:     global_buffer
      - .address_space:  global
        .offset:         32
        .size:           8
        .value_kind:     global_buffer
      - .actual_access:  read_only
        .address_space:  global
        .offset:         40
        .size:           8
        .value_kind:     global_buffer
      - .actual_access:  read_only
        .address_space:  global
        .offset:         48
        .size:           8
        .value_kind:     global_buffer
      - .offset:         56
        .size:           4
        .value_kind:     by_value
      - .offset:         60
        .size:           4
        .value_kind:     by_value
      - .offset:         64
        .size:           4
        .value_kind:     hidden_block_count_x
      - .offset:         68
        .size:           4
        .value_kind:     hidden_block_count_y
      - .offset:         72
        .size:           4
        .value_kind:     hidden_block_count_z
      - .offset:         76
        .size:           2
        .value_kind:     hidden_group_size_x
      - .offset:         78
        .size:           2
        .value_kind:     hidden_group_size_y
      - .offset:         80
        .size:           2
        .value_kind:     hidden_group_size_z
      - .offset:         82
        .size:           2
        .value_kind:     hidden_remainder_x
      - .offset:         84
        .size:           2
        .value_kind:     hidden_remainder_y
      - .offset:         86
        .size:           2
        .value_kind:     hidden_remainder_z
      - .offset:         104
        .size:           8
        .value_kind:     hidden_global_offset_x
      - .offset:         112
        .size:           8
        .value_kind:     hidden_global_offset_y
      - .offset:         120
        .size:           8
        .value_kind:     hidden_global_offset_z
      - .offset:         128
        .size:           2
        .value_kind:     hidden_grid_dims
      - .offset:         144
        .size:           8
        .value_kind:     hidden_hostcall_buffer
    .group_segment_fixed_size: 0
    .kernarg_segment_align: 8
    .kernarg_segment_size: 320
    .language:       OpenCL C
    .language_version:
      - 2
      - 0
    .max_flat_workgroup_size: 1024
    .name:           _Z17wvSplitKQ_hf_sml_I6__halfN3c1015Float8_e4m3fnuzELi64ELi4ELi16ELi16ELi1ELi3EEviiiPKT0_S5_PT_PKfS9_ii
    .private_segment_fixed_size: 64
    .sgpr_count:     40
    .sgpr_spill_count: 0
    .symbol:         _Z17wvSplitKQ_hf_sml_I6__halfN3c1015Float8_e4m3fnuzELi64ELi4ELi16ELi16ELi1ELi3EEviiiPKT0_S5_PT_PKfS9_ii.kd
    .uniform_work_group_size: 1
    .uses_dynamic_stack: false
    .vgpr_count:     49
    .vgpr_spill_count: 0
    .wavefront_size: 64
  - .agpr_count:     0
    .args:
      - .offset:         0
        .size:           4
        .value_kind:     by_value
      - .offset:         4
        .size:           4
        .value_kind:     by_value
      - .offset:         8
        .size:           4
        .value_kind:     by_value
      - .address_space:  global
        .offset:         16
        .size:           8
        .value_kind:     global_buffer
      - .actual_access:  read_only
        .address_space:  global
        .offset:         24
        .size:           8
        .value_kind:     global_buffer
      - .address_space:  global
        .offset:         32
        .size:           8
        .value_kind:     global_buffer
      - .actual_access:  read_only
        .address_space:  global
        .offset:         40
        .size:           8
        .value_kind:     global_buffer
      - .actual_access:  read_only
        .address_space:  global
        .offset:         48
        .size:           8
        .value_kind:     global_buffer
      - .offset:         56
        .size:           4
        .value_kind:     by_value
      - .offset:         60
        .size:           4
        .value_kind:     by_value
      - .offset:         64
        .size:           4
        .value_kind:     hidden_block_count_x
      - .offset:         68
        .size:           4
        .value_kind:     hidden_block_count_y
      - .offset:         72
        .size:           4
        .value_kind:     hidden_block_count_z
      - .offset:         76
        .size:           2
        .value_kind:     hidden_group_size_x
      - .offset:         78
        .size:           2
        .value_kind:     hidden_group_size_y
      - .offset:         80
        .size:           2
        .value_kind:     hidden_group_size_z
      - .offset:         82
        .size:           2
        .value_kind:     hidden_remainder_x
      - .offset:         84
        .size:           2
        .value_kind:     hidden_remainder_y
      - .offset:         86
        .size:           2
        .value_kind:     hidden_remainder_z
      - .offset:         104
        .size:           8
        .value_kind:     hidden_global_offset_x
      - .offset:         112
        .size:           8
        .value_kind:     hidden_global_offset_y
      - .offset:         120
        .size:           8
        .value_kind:     hidden_global_offset_z
      - .offset:         128
        .size:           2
        .value_kind:     hidden_grid_dims
      - .offset:         144
        .size:           8
        .value_kind:     hidden_hostcall_buffer
    .group_segment_fixed_size: 0
    .kernarg_segment_align: 8
    .kernarg_segment_size: 320
    .language:       OpenCL C
    .language_version:
      - 2
      - 0
    .max_flat_workgroup_size: 1024
    .name:           _Z13wvSplitKQ_hf_I6__halfN3c1015Float8_e4m3fnuzELi64ELi7ELi16ELi16ELi1ELi3EEviiiPKT0_S5_PT_PKfS9_ii
    .private_segment_fixed_size: 64
    .sgpr_count:     40
    .sgpr_spill_count: 0
    .symbol:         _Z13wvSplitKQ_hf_I6__halfN3c1015Float8_e4m3fnuzELi64ELi7ELi16ELi16ELi1ELi3EEviiiPKT0_S5_PT_PKfS9_ii.kd
    .uniform_work_group_size: 1
    .uses_dynamic_stack: false
    .vgpr_count:     49
    .vgpr_spill_count: 0
    .wavefront_size: 64
  - .agpr_count:     0
    .args:
      - .offset:         0
        .size:           4
        .value_kind:     by_value
      - .offset:         4
        .size:           4
        .value_kind:     by_value
      - .offset:         8
        .size:           4
        .value_kind:     by_value
      - .address_space:  global
        .offset:         16
        .size:           8
        .value_kind:     global_buffer
      - .actual_access:  read_only
        .address_space:  global
        .offset:         24
        .size:           8
        .value_kind:     global_buffer
      - .address_space:  global
        .offset:         32
        .size:           8
        .value_kind:     global_buffer
      - .actual_access:  read_only
        .address_space:  global
        .offset:         40
        .size:           8
        .value_kind:     global_buffer
      - .actual_access:  read_only
        .address_space:  global
        .offset:         48
        .size:           8
        .value_kind:     global_buffer
      - .offset:         56
        .size:           4
        .value_kind:     by_value
      - .offset:         60
        .size:           4
        .value_kind:     by_value
      - .offset:         64
        .size:           4
        .value_kind:     hidden_block_count_x
      - .offset:         68
        .size:           4
        .value_kind:     hidden_block_count_y
      - .offset:         72
        .size:           4
        .value_kind:     hidden_block_count_z
      - .offset:         76
        .size:           2
        .value_kind:     hidden_group_size_x
      - .offset:         78
        .size:           2
        .value_kind:     hidden_group_size_y
      - .offset:         80
        .size:           2
        .value_kind:     hidden_group_size_z
      - .offset:         82
        .size:           2
        .value_kind:     hidden_remainder_x
      - .offset:         84
        .size:           2
        .value_kind:     hidden_remainder_y
      - .offset:         86
        .size:           2
        .value_kind:     hidden_remainder_z
      - .offset:         104
        .size:           8
        .value_kind:     hidden_global_offset_x
      - .offset:         112
        .size:           8
        .value_kind:     hidden_global_offset_y
      - .offset:         120
        .size:           8
        .value_kind:     hidden_global_offset_z
      - .offset:         128
        .size:           2
        .value_kind:     hidden_grid_dims
      - .offset:         144
        .size:           8
        .value_kind:     hidden_hostcall_buffer
    .group_segment_fixed_size: 0
    .kernarg_segment_align: 8
    .kernarg_segment_size: 320
    .language:       OpenCL C
    .language_version:
      - 2
      - 0
    .max_flat_workgroup_size: 1024
    .name:           _Z17wvSplitKQ_hf_sml_I6__halfN3c1015Float8_e4m3fnuzELi64ELi4ELi16ELi16ELi1ELi4EEviiiPKT0_S5_PT_PKfS9_ii
    .private_segment_fixed_size: 64
    .sgpr_count:     40
    .sgpr_spill_count: 0
    .symbol:         _Z17wvSplitKQ_hf_sml_I6__halfN3c1015Float8_e4m3fnuzELi64ELi4ELi16ELi16ELi1ELi4EEviiiPKT0_S5_PT_PKfS9_ii.kd
    .uniform_work_group_size: 1
    .uses_dynamic_stack: false
    .vgpr_count:     49
    .vgpr_spill_count: 0
    .wavefront_size: 64
  - .agpr_count:     0
    .args:
      - .offset:         0
        .size:           4
        .value_kind:     by_value
      - .offset:         4
        .size:           4
        .value_kind:     by_value
      - .offset:         8
        .size:           4
        .value_kind:     by_value
      - .address_space:  global
        .offset:         16
        .size:           8
        .value_kind:     global_buffer
      - .actual_access:  read_only
        .address_space:  global
        .offset:         24
        .size:           8
        .value_kind:     global_buffer
      - .address_space:  global
        .offset:         32
        .size:           8
        .value_kind:     global_buffer
      - .actual_access:  read_only
        .address_space:  global
        .offset:         40
        .size:           8
        .value_kind:     global_buffer
      - .actual_access:  read_only
        .address_space:  global
        .offset:         48
        .size:           8
        .value_kind:     global_buffer
      - .offset:         56
        .size:           4
        .value_kind:     by_value
      - .offset:         60
        .size:           4
        .value_kind:     by_value
      - .offset:         64
        .size:           4
        .value_kind:     hidden_block_count_x
      - .offset:         68
        .size:           4
        .value_kind:     hidden_block_count_y
      - .offset:         72
        .size:           4
        .value_kind:     hidden_block_count_z
      - .offset:         76
        .size:           2
        .value_kind:     hidden_group_size_x
      - .offset:         78
        .size:           2
        .value_kind:     hidden_group_size_y
      - .offset:         80
        .size:           2
        .value_kind:     hidden_group_size_z
      - .offset:         82
        .size:           2
        .value_kind:     hidden_remainder_x
      - .offset:         84
        .size:           2
        .value_kind:     hidden_remainder_y
      - .offset:         86
        .size:           2
        .value_kind:     hidden_remainder_z
      - .offset:         104
        .size:           8
        .value_kind:     hidden_global_offset_x
      - .offset:         112
        .size:           8
        .value_kind:     hidden_global_offset_y
      - .offset:         120
        .size:           8
        .value_kind:     hidden_global_offset_z
      - .offset:         128
        .size:           2
        .value_kind:     hidden_grid_dims
      - .offset:         144
        .size:           8
        .value_kind:     hidden_hostcall_buffer
    .group_segment_fixed_size: 0
    .kernarg_segment_align: 8
    .kernarg_segment_size: 320
    .language:       OpenCL C
    .language_version:
      - 2
      - 0
    .max_flat_workgroup_size: 1024
    .name:           _Z13wvSplitKQ_hf_I6__halfN3c1015Float8_e4m3fnuzELi64ELi7ELi16ELi16ELi1ELi4EEviiiPKT0_S5_PT_PKfS9_ii
    .private_segment_fixed_size: 64
    .sgpr_count:     40
    .sgpr_spill_count: 0
    .symbol:         _Z13wvSplitKQ_hf_I6__halfN3c1015Float8_e4m3fnuzELi64ELi7ELi16ELi16ELi1ELi4EEviiiPKT0_S5_PT_PKfS9_ii.kd
    .uniform_work_group_size: 1
    .uses_dynamic_stack: false
    .vgpr_count:     49
    .vgpr_spill_count: 0
    .wavefront_size: 64
  - .agpr_count:     0
    .args:
      - .offset:         0
        .size:           4
        .value_kind:     by_value
      - .offset:         4
        .size:           4
        .value_kind:     by_value
      - .offset:         8
        .size:           4
        .value_kind:     by_value
      - .address_space:  global
        .offset:         16
        .size:           8
        .value_kind:     global_buffer
      - .actual_access:  read_only
        .address_space:  global
        .offset:         24
        .size:           8
        .value_kind:     global_buffer
      - .address_space:  global
        .offset:         32
        .size:           8
        .value_kind:     global_buffer
      - .actual_access:  read_only
        .address_space:  global
        .offset:         40
        .size:           8
        .value_kind:     global_buffer
      - .actual_access:  read_only
        .address_space:  global
        .offset:         48
        .size:           8
        .value_kind:     global_buffer
      - .offset:         56
        .size:           4
        .value_kind:     by_value
      - .offset:         60
        .size:           4
        .value_kind:     by_value
      - .offset:         64
        .size:           4
        .value_kind:     hidden_block_count_x
      - .offset:         68
        .size:           4
        .value_kind:     hidden_block_count_y
      - .offset:         72
        .size:           4
        .value_kind:     hidden_block_count_z
      - .offset:         76
        .size:           2
        .value_kind:     hidden_group_size_x
      - .offset:         78
        .size:           2
        .value_kind:     hidden_group_size_y
      - .offset:         80
        .size:           2
        .value_kind:     hidden_group_size_z
      - .offset:         82
        .size:           2
        .value_kind:     hidden_remainder_x
      - .offset:         84
        .size:           2
        .value_kind:     hidden_remainder_y
      - .offset:         86
        .size:           2
        .value_kind:     hidden_remainder_z
      - .offset:         104
        .size:           8
        .value_kind:     hidden_global_offset_x
      - .offset:         112
        .size:           8
        .value_kind:     hidden_global_offset_y
      - .offset:         120
        .size:           8
        .value_kind:     hidden_global_offset_z
      - .offset:         128
        .size:           2
        .value_kind:     hidden_grid_dims
      - .offset:         144
        .size:           8
        .value_kind:     hidden_hostcall_buffer
    .group_segment_fixed_size: 0
    .kernarg_segment_align: 8
    .kernarg_segment_size: 320
    .language:       OpenCL C
    .language_version:
      - 2
      - 0
    .max_flat_workgroup_size: 1024
    .name:           _Z17wvSplitKQ_hf_sml_I14__hip_bfloat16N3c1013Float8_e4m3fnELi64ELi2ELi16ELi16ELi2ELi1EEviiiPKT0_S5_PT_PKfS9_ii
    .private_segment_fixed_size: 64
    .sgpr_count:     40
    .sgpr_spill_count: 0
    .symbol:         _Z17wvSplitKQ_hf_sml_I14__hip_bfloat16N3c1013Float8_e4m3fnELi64ELi2ELi16ELi16ELi2ELi1EEviiiPKT0_S5_PT_PKfS9_ii.kd
    .uniform_work_group_size: 1
    .uses_dynamic_stack: false
    .vgpr_count:     49
    .vgpr_spill_count: 0
    .wavefront_size: 64
  - .agpr_count:     0
    .args:
      - .offset:         0
        .size:           4
        .value_kind:     by_value
      - .offset:         4
        .size:           4
        .value_kind:     by_value
      - .offset:         8
        .size:           4
        .value_kind:     by_value
      - .address_space:  global
        .offset:         16
        .size:           8
        .value_kind:     global_buffer
      - .actual_access:  read_only
        .address_space:  global
        .offset:         24
        .size:           8
        .value_kind:     global_buffer
      - .address_space:  global
        .offset:         32
        .size:           8
        .value_kind:     global_buffer
      - .actual_access:  read_only
        .address_space:  global
        .offset:         40
        .size:           8
        .value_kind:     global_buffer
      - .actual_access:  read_only
        .address_space:  global
        .offset:         48
        .size:           8
        .value_kind:     global_buffer
      - .offset:         56
        .size:           4
        .value_kind:     by_value
      - .offset:         60
        .size:           4
        .value_kind:     by_value
      - .offset:         64
        .size:           4
        .value_kind:     hidden_block_count_x
      - .offset:         68
        .size:           4
        .value_kind:     hidden_block_count_y
      - .offset:         72
        .size:           4
        .value_kind:     hidden_block_count_z
      - .offset:         76
        .size:           2
        .value_kind:     hidden_group_size_x
      - .offset:         78
        .size:           2
        .value_kind:     hidden_group_size_y
      - .offset:         80
        .size:           2
        .value_kind:     hidden_group_size_z
      - .offset:         82
        .size:           2
        .value_kind:     hidden_remainder_x
      - .offset:         84
        .size:           2
        .value_kind:     hidden_remainder_y
      - .offset:         86
        .size:           2
        .value_kind:     hidden_remainder_z
      - .offset:         104
        .size:           8
        .value_kind:     hidden_global_offset_x
      - .offset:         112
        .size:           8
        .value_kind:     hidden_global_offset_y
      - .offset:         120
        .size:           8
        .value_kind:     hidden_global_offset_z
      - .offset:         128
        .size:           2
        .value_kind:     hidden_grid_dims
      - .offset:         144
        .size:           8
        .value_kind:     hidden_hostcall_buffer
    .group_segment_fixed_size: 0
    .kernarg_segment_align: 8
    .kernarg_segment_size: 320
    .language:       OpenCL C
    .language_version:
      - 2
      - 0
    .max_flat_workgroup_size: 1024
    .name:           _Z13wvSplitKQ_hf_I14__hip_bfloat16N3c1013Float8_e4m3fnELi64ELi2ELi16ELi16ELi2ELi1EEviiiPKT0_S5_PT_PKfS9_ii
    .private_segment_fixed_size: 64
    .sgpr_count:     40
    .sgpr_spill_count: 0
    .symbol:         _Z13wvSplitKQ_hf_I14__hip_bfloat16N3c1013Float8_e4m3fnELi64ELi2ELi16ELi16ELi2ELi1EEviiiPKT0_S5_PT_PKfS9_ii.kd
    .uniform_work_group_size: 1
    .uses_dynamic_stack: false
    .vgpr_count:     49
    .vgpr_spill_count: 0
    .wavefront_size: 64
  - .agpr_count:     0
    .args:
      - .offset:         0
        .size:           4
        .value_kind:     by_value
      - .offset:         4
        .size:           4
        .value_kind:     by_value
      - .offset:         8
        .size:           4
        .value_kind:     by_value
      - .address_space:  global
        .offset:         16
        .size:           8
        .value_kind:     global_buffer
      - .actual_access:  read_only
        .address_space:  global
        .offset:         24
        .size:           8
        .value_kind:     global_buffer
      - .address_space:  global
        .offset:         32
        .size:           8
        .value_kind:     global_buffer
      - .actual_access:  read_only
        .address_space:  global
        .offset:         40
        .size:           8
        .value_kind:     global_buffer
      - .actual_access:  read_only
        .address_space:  global
        .offset:         48
        .size:           8
        .value_kind:     global_buffer
      - .offset:         56
        .size:           4
        .value_kind:     by_value
      - .offset:         60
        .size:           4
        .value_kind:     by_value
      - .offset:         64
        .size:           4
        .value_kind:     hidden_block_count_x
      - .offset:         68
        .size:           4
        .value_kind:     hidden_block_count_y
      - .offset:         72
        .size:           4
        .value_kind:     hidden_block_count_z
      - .offset:         76
        .size:           2
        .value_kind:     hidden_group_size_x
      - .offset:         78
        .size:           2
        .value_kind:     hidden_group_size_y
      - .offset:         80
        .size:           2
        .value_kind:     hidden_group_size_z
      - .offset:         82
        .size:           2
        .value_kind:     hidden_remainder_x
      - .offset:         84
        .size:           2
        .value_kind:     hidden_remainder_y
      - .offset:         86
        .size:           2
        .value_kind:     hidden_remainder_z
      - .offset:         104
        .size:           8
        .value_kind:     hidden_global_offset_x
      - .offset:         112
        .size:           8
        .value_kind:     hidden_global_offset_y
      - .offset:         120
        .size:           8
        .value_kind:     hidden_global_offset_z
      - .offset:         128
        .size:           2
        .value_kind:     hidden_grid_dims
      - .offset:         144
        .size:           8
        .value_kind:     hidden_hostcall_buffer
    .group_segment_fixed_size: 0
    .kernarg_segment_align: 8
    .kernarg_segment_size: 320
    .language:       OpenCL C
    .language_version:
      - 2
      - 0
    .max_flat_workgroup_size: 1024
    .name:           _Z17wvSplitKQ_hf_sml_I14__hip_bfloat16N3c1013Float8_e4m3fnELi64ELi2ELi16ELi16ELi2ELi2EEviiiPKT0_S5_PT_PKfS9_ii
    .private_segment_fixed_size: 64
    .sgpr_count:     40
    .sgpr_spill_count: 0
    .symbol:         _Z17wvSplitKQ_hf_sml_I14__hip_bfloat16N3c1013Float8_e4m3fnELi64ELi2ELi16ELi16ELi2ELi2EEviiiPKT0_S5_PT_PKfS9_ii.kd
    .uniform_work_group_size: 1
    .uses_dynamic_stack: false
    .vgpr_count:     49
    .vgpr_spill_count: 0
    .wavefront_size: 64
  - .agpr_count:     0
    .args:
      - .offset:         0
        .size:           4
        .value_kind:     by_value
      - .offset:         4
        .size:           4
        .value_kind:     by_value
      - .offset:         8
        .size:           4
        .value_kind:     by_value
      - .address_space:  global
        .offset:         16
        .size:           8
        .value_kind:     global_buffer
      - .actual_access:  read_only
        .address_space:  global
        .offset:         24
        .size:           8
        .value_kind:     global_buffer
      - .address_space:  global
        .offset:         32
        .size:           8
        .value_kind:     global_buffer
      - .actual_access:  read_only
        .address_space:  global
        .offset:         40
        .size:           8
        .value_kind:     global_buffer
      - .actual_access:  read_only
        .address_space:  global
        .offset:         48
        .size:           8
        .value_kind:     global_buffer
      - .offset:         56
        .size:           4
        .value_kind:     by_value
      - .offset:         60
        .size:           4
        .value_kind:     by_value
      - .offset:         64
        .size:           4
        .value_kind:     hidden_block_count_x
      - .offset:         68
        .size:           4
        .value_kind:     hidden_block_count_y
      - .offset:         72
        .size:           4
        .value_kind:     hidden_block_count_z
      - .offset:         76
        .size:           2
        .value_kind:     hidden_group_size_x
      - .offset:         78
        .size:           2
        .value_kind:     hidden_group_size_y
      - .offset:         80
        .size:           2
        .value_kind:     hidden_group_size_z
      - .offset:         82
        .size:           2
        .value_kind:     hidden_remainder_x
      - .offset:         84
        .size:           2
        .value_kind:     hidden_remainder_y
      - .offset:         86
        .size:           2
        .value_kind:     hidden_remainder_z
      - .offset:         104
        .size:           8
        .value_kind:     hidden_global_offset_x
      - .offset:         112
        .size:           8
        .value_kind:     hidden_global_offset_y
      - .offset:         120
        .size:           8
        .value_kind:     hidden_global_offset_z
      - .offset:         128
        .size:           2
        .value_kind:     hidden_grid_dims
      - .offset:         144
        .size:           8
        .value_kind:     hidden_hostcall_buffer
    .group_segment_fixed_size: 0
    .kernarg_segment_align: 8
    .kernarg_segment_size: 320
    .language:       OpenCL C
    .language_version:
      - 2
      - 0
    .max_flat_workgroup_size: 1024
    .name:           _Z13wvSplitKQ_hf_I14__hip_bfloat16N3c1013Float8_e4m3fnELi64ELi2ELi16ELi16ELi2ELi2EEviiiPKT0_S5_PT_PKfS9_ii
    .private_segment_fixed_size: 64
    .sgpr_count:     40
    .sgpr_spill_count: 0
    .symbol:         _Z13wvSplitKQ_hf_I14__hip_bfloat16N3c1013Float8_e4m3fnELi64ELi2ELi16ELi16ELi2ELi2EEviiiPKT0_S5_PT_PKfS9_ii.kd
    .uniform_work_group_size: 1
    .uses_dynamic_stack: false
    .vgpr_count:     49
    .vgpr_spill_count: 0
    .wavefront_size: 64
  - .agpr_count:     0
    .args:
      - .offset:         0
        .size:           4
        .value_kind:     by_value
      - .offset:         4
        .size:           4
        .value_kind:     by_value
      - .offset:         8
        .size:           4
        .value_kind:     by_value
      - .address_space:  global
        .offset:         16
        .size:           8
        .value_kind:     global_buffer
      - .actual_access:  read_only
        .address_space:  global
        .offset:         24
        .size:           8
        .value_kind:     global_buffer
      - .address_space:  global
        .offset:         32
        .size:           8
        .value_kind:     global_buffer
      - .actual_access:  read_only
        .address_space:  global
        .offset:         40
        .size:           8
        .value_kind:     global_buffer
      - .actual_access:  read_only
        .address_space:  global
        .offset:         48
        .size:           8
        .value_kind:     global_buffer
      - .offset:         56
        .size:           4
        .value_kind:     by_value
      - .offset:         60
        .size:           4
        .value_kind:     by_value
      - .offset:         64
        .size:           4
        .value_kind:     hidden_block_count_x
      - .offset:         68
        .size:           4
        .value_kind:     hidden_block_count_y
      - .offset:         72
        .size:           4
        .value_kind:     hidden_block_count_z
      - .offset:         76
        .size:           2
        .value_kind:     hidden_group_size_x
      - .offset:         78
        .size:           2
        .value_kind:     hidden_group_size_y
      - .offset:         80
        .size:           2
        .value_kind:     hidden_group_size_z
      - .offset:         82
        .size:           2
        .value_kind:     hidden_remainder_x
      - .offset:         84
        .size:           2
        .value_kind:     hidden_remainder_y
      - .offset:         86
        .size:           2
        .value_kind:     hidden_remainder_z
      - .offset:         104
        .size:           8
        .value_kind:     hidden_global_offset_x
      - .offset:         112
        .size:           8
        .value_kind:     hidden_global_offset_y
      - .offset:         120
        .size:           8
        .value_kind:     hidden_global_offset_z
      - .offset:         128
        .size:           2
        .value_kind:     hidden_grid_dims
      - .offset:         144
        .size:           8
        .value_kind:     hidden_hostcall_buffer
    .group_segment_fixed_size: 0
    .kernarg_segment_align: 8
    .kernarg_segment_size: 320
    .language:       OpenCL C
    .language_version:
      - 2
      - 0
    .max_flat_workgroup_size: 1024
    .name:           _Z17wvSplitKQ_hf_sml_I14__hip_bfloat16N3c1013Float8_e4m3fnELi64ELi4ELi16ELi16ELi1ELi3EEviiiPKT0_S5_PT_PKfS9_ii
    .private_segment_fixed_size: 64
    .sgpr_count:     40
    .sgpr_spill_count: 0
    .symbol:         _Z17wvSplitKQ_hf_sml_I14__hip_bfloat16N3c1013Float8_e4m3fnELi64ELi4ELi16ELi16ELi1ELi3EEviiiPKT0_S5_PT_PKfS9_ii.kd
    .uniform_work_group_size: 1
    .uses_dynamic_stack: false
    .vgpr_count:     49
    .vgpr_spill_count: 0
    .wavefront_size: 64
  - .agpr_count:     0
    .args:
      - .offset:         0
        .size:           4
        .value_kind:     by_value
      - .offset:         4
        .size:           4
        .value_kind:     by_value
      - .offset:         8
        .size:           4
        .value_kind:     by_value
      - .address_space:  global
        .offset:         16
        .size:           8
        .value_kind:     global_buffer
      - .actual_access:  read_only
        .address_space:  global
        .offset:         24
        .size:           8
        .value_kind:     global_buffer
      - .address_space:  global
        .offset:         32
        .size:           8
        .value_kind:     global_buffer
      - .actual_access:  read_only
        .address_space:  global
        .offset:         40
        .size:           8
        .value_kind:     global_buffer
      - .actual_access:  read_only
        .address_space:  global
        .offset:         48
        .size:           8
        .value_kind:     global_buffer
      - .offset:         56
        .size:           4
        .value_kind:     by_value
      - .offset:         60
        .size:           4
        .value_kind:     by_value
      - .offset:         64
        .size:           4
        .value_kind:     hidden_block_count_x
      - .offset:         68
        .size:           4
        .value_kind:     hidden_block_count_y
      - .offset:         72
        .size:           4
        .value_kind:     hidden_block_count_z
      - .offset:         76
        .size:           2
        .value_kind:     hidden_group_size_x
      - .offset:         78
        .size:           2
        .value_kind:     hidden_group_size_y
      - .offset:         80
        .size:           2
        .value_kind:     hidden_group_size_z
      - .offset:         82
        .size:           2
        .value_kind:     hidden_remainder_x
      - .offset:         84
        .size:           2
        .value_kind:     hidden_remainder_y
      - .offset:         86
        .size:           2
        .value_kind:     hidden_remainder_z
      - .offset:         104
        .size:           8
        .value_kind:     hidden_global_offset_x
      - .offset:         112
        .size:           8
        .value_kind:     hidden_global_offset_y
      - .offset:         120
        .size:           8
        .value_kind:     hidden_global_offset_z
      - .offset:         128
        .size:           2
        .value_kind:     hidden_grid_dims
      - .offset:         144
        .size:           8
        .value_kind:     hidden_hostcall_buffer
    .group_segment_fixed_size: 0
    .kernarg_segment_align: 8
    .kernarg_segment_size: 320
    .language:       OpenCL C
    .language_version:
      - 2
      - 0
    .max_flat_workgroup_size: 1024
    .name:           _Z13wvSplitKQ_hf_I14__hip_bfloat16N3c1013Float8_e4m3fnELi64ELi7ELi16ELi16ELi1ELi3EEviiiPKT0_S5_PT_PKfS9_ii
    .private_segment_fixed_size: 64
    .sgpr_count:     40
    .sgpr_spill_count: 0
    .symbol:         _Z13wvSplitKQ_hf_I14__hip_bfloat16N3c1013Float8_e4m3fnELi64ELi7ELi16ELi16ELi1ELi3EEviiiPKT0_S5_PT_PKfS9_ii.kd
    .uniform_work_group_size: 1
    .uses_dynamic_stack: false
    .vgpr_count:     49
    .vgpr_spill_count: 0
    .wavefront_size: 64
  - .agpr_count:     0
    .args:
      - .offset:         0
        .size:           4
        .value_kind:     by_value
      - .offset:         4
        .size:           4
        .value_kind:     by_value
      - .offset:         8
        .size:           4
        .value_kind:     by_value
      - .address_space:  global
        .offset:         16
        .size:           8
        .value_kind:     global_buffer
      - .actual_access:  read_only
        .address_space:  global
        .offset:         24
        .size:           8
        .value_kind:     global_buffer
      - .address_space:  global
        .offset:         32
        .size:           8
        .value_kind:     global_buffer
      - .actual_access:  read_only
        .address_space:  global
        .offset:         40
        .size:           8
        .value_kind:     global_buffer
      - .actual_access:  read_only
        .address_space:  global
        .offset:         48
        .size:           8
        .value_kind:     global_buffer
      - .offset:         56
        .size:           4
        .value_kind:     by_value
      - .offset:         60
        .size:           4
        .value_kind:     by_value
      - .offset:         64
        .size:           4
        .value_kind:     hidden_block_count_x
      - .offset:         68
        .size:           4
        .value_kind:     hidden_block_count_y
      - .offset:         72
        .size:           4
        .value_kind:     hidden_block_count_z
      - .offset:         76
        .size:           2
        .value_kind:     hidden_group_size_x
      - .offset:         78
        .size:           2
        .value_kind:     hidden_group_size_y
      - .offset:         80
        .size:           2
        .value_kind:     hidden_group_size_z
      - .offset:         82
        .size:           2
        .value_kind:     hidden_remainder_x
      - .offset:         84
        .size:           2
        .value_kind:     hidden_remainder_y
      - .offset:         86
        .size:           2
        .value_kind:     hidden_remainder_z
      - .offset:         104
        .size:           8
        .value_kind:     hidden_global_offset_x
      - .offset:         112
        .size:           8
        .value_kind:     hidden_global_offset_y
      - .offset:         120
        .size:           8
        .value_kind:     hidden_global_offset_z
      - .offset:         128
        .size:           2
        .value_kind:     hidden_grid_dims
      - .offset:         144
        .size:           8
        .value_kind:     hidden_hostcall_buffer
    .group_segment_fixed_size: 0
    .kernarg_segment_align: 8
    .kernarg_segment_size: 320
    .language:       OpenCL C
    .language_version:
      - 2
      - 0
    .max_flat_workgroup_size: 1024
    .name:           _Z17wvSplitKQ_hf_sml_I14__hip_bfloat16N3c1013Float8_e4m3fnELi64ELi4ELi16ELi16ELi1ELi4EEviiiPKT0_S5_PT_PKfS9_ii
    .private_segment_fixed_size: 64
    .sgpr_count:     40
    .sgpr_spill_count: 0
    .symbol:         _Z17wvSplitKQ_hf_sml_I14__hip_bfloat16N3c1013Float8_e4m3fnELi64ELi4ELi16ELi16ELi1ELi4EEviiiPKT0_S5_PT_PKfS9_ii.kd
    .uniform_work_group_size: 1
    .uses_dynamic_stack: false
    .vgpr_count:     49
    .vgpr_spill_count: 0
    .wavefront_size: 64
  - .agpr_count:     0
    .args:
      - .offset:         0
        .size:           4
        .value_kind:     by_value
      - .offset:         4
        .size:           4
        .value_kind:     by_value
      - .offset:         8
        .size:           4
        .value_kind:     by_value
      - .address_space:  global
        .offset:         16
        .size:           8
        .value_kind:     global_buffer
      - .actual_access:  read_only
        .address_space:  global
        .offset:         24
        .size:           8
        .value_kind:     global_buffer
      - .address_space:  global
        .offset:         32
        .size:           8
        .value_kind:     global_buffer
      - .actual_access:  read_only
        .address_space:  global
        .offset:         40
        .size:           8
        .value_kind:     global_buffer
      - .actual_access:  read_only
        .address_space:  global
        .offset:         48
        .size:           8
        .value_kind:     global_buffer
      - .offset:         56
        .size:           4
        .value_kind:     by_value
      - .offset:         60
        .size:           4
        .value_kind:     by_value
      - .offset:         64
        .size:           4
        .value_kind:     hidden_block_count_x
      - .offset:         68
        .size:           4
        .value_kind:     hidden_block_count_y
      - .offset:         72
        .size:           4
        .value_kind:     hidden_block_count_z
      - .offset:         76
        .size:           2
        .value_kind:     hidden_group_size_x
      - .offset:         78
        .size:           2
        .value_kind:     hidden_group_size_y
      - .offset:         80
        .size:           2
        .value_kind:     hidden_group_size_z
      - .offset:         82
        .size:           2
        .value_kind:     hidden_remainder_x
      - .offset:         84
        .size:           2
        .value_kind:     hidden_remainder_y
      - .offset:         86
        .size:           2
        .value_kind:     hidden_remainder_z
      - .offset:         104
        .size:           8
        .value_kind:     hidden_global_offset_x
      - .offset:         112
        .size:           8
        .value_kind:     hidden_global_offset_y
      - .offset:         120
        .size:           8
        .value_kind:     hidden_global_offset_z
      - .offset:         128
        .size:           2
        .value_kind:     hidden_grid_dims
      - .offset:         144
        .size:           8
        .value_kind:     hidden_hostcall_buffer
    .group_segment_fixed_size: 0
    .kernarg_segment_align: 8
    .kernarg_segment_size: 320
    .language:       OpenCL C
    .language_version:
      - 2
      - 0
    .max_flat_workgroup_size: 1024
    .name:           _Z13wvSplitKQ_hf_I14__hip_bfloat16N3c1013Float8_e4m3fnELi64ELi7ELi16ELi16ELi1ELi4EEviiiPKT0_S5_PT_PKfS9_ii
    .private_segment_fixed_size: 64
    .sgpr_count:     40
    .sgpr_spill_count: 0
    .symbol:         _Z13wvSplitKQ_hf_I14__hip_bfloat16N3c1013Float8_e4m3fnELi64ELi7ELi16ELi16ELi1ELi4EEviiiPKT0_S5_PT_PKfS9_ii.kd
    .uniform_work_group_size: 1
    .uses_dynamic_stack: false
    .vgpr_count:     49
    .vgpr_spill_count: 0
    .wavefront_size: 64
  - .agpr_count:     0
    .args:
      - .offset:         0
        .size:           4
        .value_kind:     by_value
      - .offset:         4
        .size:           4
        .value_kind:     by_value
      - .offset:         8
        .size:           4
        .value_kind:     by_value
      - .address_space:  global
        .offset:         16
        .size:           8
        .value_kind:     global_buffer
      - .actual_access:  read_only
        .address_space:  global
        .offset:         24
        .size:           8
        .value_kind:     global_buffer
      - .address_space:  global
        .offset:         32
        .size:           8
        .value_kind:     global_buffer
      - .actual_access:  read_only
        .address_space:  global
        .offset:         40
        .size:           8
        .value_kind:     global_buffer
      - .actual_access:  read_only
        .address_space:  global
        .offset:         48
        .size:           8
        .value_kind:     global_buffer
      - .offset:         56
        .size:           4
        .value_kind:     by_value
      - .offset:         60
        .size:           4
        .value_kind:     by_value
      - .offset:         64
        .size:           4
        .value_kind:     hidden_block_count_x
      - .offset:         68
        .size:           4
        .value_kind:     hidden_block_count_y
      - .offset:         72
        .size:           4
        .value_kind:     hidden_block_count_z
      - .offset:         76
        .size:           2
        .value_kind:     hidden_group_size_x
      - .offset:         78
        .size:           2
        .value_kind:     hidden_group_size_y
      - .offset:         80
        .size:           2
        .value_kind:     hidden_group_size_z
      - .offset:         82
        .size:           2
        .value_kind:     hidden_remainder_x
      - .offset:         84
        .size:           2
        .value_kind:     hidden_remainder_y
      - .offset:         86
        .size:           2
        .value_kind:     hidden_remainder_z
      - .offset:         104
        .size:           8
        .value_kind:     hidden_global_offset_x
      - .offset:         112
        .size:           8
        .value_kind:     hidden_global_offset_y
      - .offset:         120
        .size:           8
        .value_kind:     hidden_global_offset_z
      - .offset:         128
        .size:           2
        .value_kind:     hidden_grid_dims
      - .offset:         144
        .size:           8
        .value_kind:     hidden_hostcall_buffer
    .group_segment_fixed_size: 0
    .kernarg_segment_align: 8
    .kernarg_segment_size: 320
    .language:       OpenCL C
    .language_version:
      - 2
      - 0
    .max_flat_workgroup_size: 1024
    .name:           _Z17wvSplitKQ_hf_sml_I14__hip_bfloat16N3c1015Float8_e4m3fnuzELi64ELi2ELi16ELi16ELi2ELi1EEviiiPKT0_S5_PT_PKfS9_ii
    .private_segment_fixed_size: 64
    .sgpr_count:     40
    .sgpr_spill_count: 0
    .symbol:         _Z17wvSplitKQ_hf_sml_I14__hip_bfloat16N3c1015Float8_e4m3fnuzELi64ELi2ELi16ELi16ELi2ELi1EEviiiPKT0_S5_PT_PKfS9_ii.kd
    .uniform_work_group_size: 1
    .uses_dynamic_stack: false
    .vgpr_count:     49
    .vgpr_spill_count: 0
    .wavefront_size: 64
  - .agpr_count:     0
    .args:
      - .offset:         0
        .size:           4
        .value_kind:     by_value
      - .offset:         4
        .size:           4
        .value_kind:     by_value
      - .offset:         8
        .size:           4
        .value_kind:     by_value
      - .address_space:  global
        .offset:         16
        .size:           8
        .value_kind:     global_buffer
      - .actual_access:  read_only
        .address_space:  global
        .offset:         24
        .size:           8
        .value_kind:     global_buffer
      - .address_space:  global
        .offset:         32
        .size:           8
        .value_kind:     global_buffer
      - .actual_access:  read_only
        .address_space:  global
        .offset:         40
        .size:           8
        .value_kind:     global_buffer
      - .actual_access:  read_only
        .address_space:  global
        .offset:         48
        .size:           8
        .value_kind:     global_buffer
      - .offset:         56
        .size:           4
        .value_kind:     by_value
      - .offset:         60
        .size:           4
        .value_kind:     by_value
      - .offset:         64
        .size:           4
        .value_kind:     hidden_block_count_x
      - .offset:         68
        .size:           4
        .value_kind:     hidden_block_count_y
      - .offset:         72
        .size:           4
        .value_kind:     hidden_block_count_z
      - .offset:         76
        .size:           2
        .value_kind:     hidden_group_size_x
      - .offset:         78
        .size:           2
        .value_kind:     hidden_group_size_y
      - .offset:         80
        .size:           2
        .value_kind:     hidden_group_size_z
      - .offset:         82
        .size:           2
        .value_kind:     hidden_remainder_x
      - .offset:         84
        .size:           2
        .value_kind:     hidden_remainder_y
      - .offset:         86
        .size:           2
        .value_kind:     hidden_remainder_z
      - .offset:         104
        .size:           8
        .value_kind:     hidden_global_offset_x
      - .offset:         112
        .size:           8
        .value_kind:     hidden_global_offset_y
      - .offset:         120
        .size:           8
        .value_kind:     hidden_global_offset_z
      - .offset:         128
        .size:           2
        .value_kind:     hidden_grid_dims
      - .offset:         144
        .size:           8
        .value_kind:     hidden_hostcall_buffer
    .group_segment_fixed_size: 0
    .kernarg_segment_align: 8
    .kernarg_segment_size: 320
    .language:       OpenCL C
    .language_version:
      - 2
      - 0
    .max_flat_workgroup_size: 1024
    .name:           _Z13wvSplitKQ_hf_I14__hip_bfloat16N3c1015Float8_e4m3fnuzELi64ELi2ELi16ELi16ELi2ELi1EEviiiPKT0_S5_PT_PKfS9_ii
    .private_segment_fixed_size: 64
    .sgpr_count:     40
    .sgpr_spill_count: 0
    .symbol:         _Z13wvSplitKQ_hf_I14__hip_bfloat16N3c1015Float8_e4m3fnuzELi64ELi2ELi16ELi16ELi2ELi1EEviiiPKT0_S5_PT_PKfS9_ii.kd
    .uniform_work_group_size: 1
    .uses_dynamic_stack: false
    .vgpr_count:     49
    .vgpr_spill_count: 0
    .wavefront_size: 64
  - .agpr_count:     0
    .args:
      - .offset:         0
        .size:           4
        .value_kind:     by_value
      - .offset:         4
        .size:           4
        .value_kind:     by_value
      - .offset:         8
        .size:           4
        .value_kind:     by_value
      - .address_space:  global
        .offset:         16
        .size:           8
        .value_kind:     global_buffer
      - .actual_access:  read_only
        .address_space:  global
        .offset:         24
        .size:           8
        .value_kind:     global_buffer
      - .address_space:  global
        .offset:         32
        .size:           8
        .value_kind:     global_buffer
      - .actual_access:  read_only
        .address_space:  global
        .offset:         40
        .size:           8
        .value_kind:     global_buffer
      - .actual_access:  read_only
        .address_space:  global
        .offset:         48
        .size:           8
        .value_kind:     global_buffer
      - .offset:         56
        .size:           4
        .value_kind:     by_value
      - .offset:         60
        .size:           4
        .value_kind:     by_value
      - .offset:         64
        .size:           4
        .value_kind:     hidden_block_count_x
      - .offset:         68
        .size:           4
        .value_kind:     hidden_block_count_y
      - .offset:         72
        .size:           4
        .value_kind:     hidden_block_count_z
      - .offset:         76
        .size:           2
        .value_kind:     hidden_group_size_x
      - .offset:         78
        .size:           2
        .value_kind:     hidden_group_size_y
      - .offset:         80
        .size:           2
        .value_kind:     hidden_group_size_z
      - .offset:         82
        .size:           2
        .value_kind:     hidden_remainder_x
      - .offset:         84
        .size:           2
        .value_kind:     hidden_remainder_y
      - .offset:         86
        .size:           2
        .value_kind:     hidden_remainder_z
      - .offset:         104
        .size:           8
        .value_kind:     hidden_global_offset_x
      - .offset:         112
        .size:           8
        .value_kind:     hidden_global_offset_y
      - .offset:         120
        .size:           8
        .value_kind:     hidden_global_offset_z
      - .offset:         128
        .size:           2
        .value_kind:     hidden_grid_dims
      - .offset:         144
        .size:           8
        .value_kind:     hidden_hostcall_buffer
    .group_segment_fixed_size: 0
    .kernarg_segment_align: 8
    .kernarg_segment_size: 320
    .language:       OpenCL C
    .language_version:
      - 2
      - 0
    .max_flat_workgroup_size: 1024
    .name:           _Z17wvSplitKQ_hf_sml_I14__hip_bfloat16N3c1015Float8_e4m3fnuzELi64ELi2ELi16ELi16ELi2ELi2EEviiiPKT0_S5_PT_PKfS9_ii
    .private_segment_fixed_size: 64
    .sgpr_count:     40
    .sgpr_spill_count: 0
    .symbol:         _Z17wvSplitKQ_hf_sml_I14__hip_bfloat16N3c1015Float8_e4m3fnuzELi64ELi2ELi16ELi16ELi2ELi2EEviiiPKT0_S5_PT_PKfS9_ii.kd
    .uniform_work_group_size: 1
    .uses_dynamic_stack: false
    .vgpr_count:     49
    .vgpr_spill_count: 0
    .wavefront_size: 64
  - .agpr_count:     0
    .args:
      - .offset:         0
        .size:           4
        .value_kind:     by_value
      - .offset:         4
        .size:           4
        .value_kind:     by_value
      - .offset:         8
        .size:           4
        .value_kind:     by_value
      - .address_space:  global
        .offset:         16
        .size:           8
        .value_kind:     global_buffer
      - .actual_access:  read_only
        .address_space:  global
        .offset:         24
        .size:           8
        .value_kind:     global_buffer
      - .address_space:  global
        .offset:         32
        .size:           8
        .value_kind:     global_buffer
      - .actual_access:  read_only
        .address_space:  global
        .offset:         40
        .size:           8
        .value_kind:     global_buffer
      - .actual_access:  read_only
        .address_space:  global
        .offset:         48
        .size:           8
        .value_kind:     global_buffer
      - .offset:         56
        .size:           4
        .value_kind:     by_value
      - .offset:         60
        .size:           4
        .value_kind:     by_value
      - .offset:         64
        .size:           4
        .value_kind:     hidden_block_count_x
      - .offset:         68
        .size:           4
        .value_kind:     hidden_block_count_y
      - .offset:         72
        .size:           4
        .value_kind:     hidden_block_count_z
      - .offset:         76
        .size:           2
        .value_kind:     hidden_group_size_x
      - .offset:         78
        .size:           2
        .value_kind:     hidden_group_size_y
      - .offset:         80
        .size:           2
        .value_kind:     hidden_group_size_z
      - .offset:         82
        .size:           2
        .value_kind:     hidden_remainder_x
      - .offset:         84
        .size:           2
        .value_kind:     hidden_remainder_y
      - .offset:         86
        .size:           2
        .value_kind:     hidden_remainder_z
      - .offset:         104
        .size:           8
        .value_kind:     hidden_global_offset_x
      - .offset:         112
        .size:           8
        .value_kind:     hidden_global_offset_y
      - .offset:         120
        .size:           8
        .value_kind:     hidden_global_offset_z
      - .offset:         128
        .size:           2
        .value_kind:     hidden_grid_dims
      - .offset:         144
        .size:           8
        .value_kind:     hidden_hostcall_buffer
    .group_segment_fixed_size: 0
    .kernarg_segment_align: 8
    .kernarg_segment_size: 320
    .language:       OpenCL C
    .language_version:
      - 2
      - 0
    .max_flat_workgroup_size: 1024
    .name:           _Z13wvSplitKQ_hf_I14__hip_bfloat16N3c1015Float8_e4m3fnuzELi64ELi2ELi16ELi16ELi2ELi2EEviiiPKT0_S5_PT_PKfS9_ii
    .private_segment_fixed_size: 64
    .sgpr_count:     40
    .sgpr_spill_count: 0
    .symbol:         _Z13wvSplitKQ_hf_I14__hip_bfloat16N3c1015Float8_e4m3fnuzELi64ELi2ELi16ELi16ELi2ELi2EEviiiPKT0_S5_PT_PKfS9_ii.kd
    .uniform_work_group_size: 1
    .uses_dynamic_stack: false
    .vgpr_count:     49
    .vgpr_spill_count: 0
    .wavefront_size: 64
  - .agpr_count:     0
    .args:
      - .offset:         0
        .size:           4
        .value_kind:     by_value
      - .offset:         4
        .size:           4
        .value_kind:     by_value
      - .offset:         8
        .size:           4
        .value_kind:     by_value
      - .address_space:  global
        .offset:         16
        .size:           8
        .value_kind:     global_buffer
      - .actual_access:  read_only
        .address_space:  global
        .offset:         24
        .size:           8
        .value_kind:     global_buffer
      - .address_space:  global
        .offset:         32
        .size:           8
        .value_kind:     global_buffer
      - .actual_access:  read_only
        .address_space:  global
        .offset:         40
        .size:           8
        .value_kind:     global_buffer
      - .actual_access:  read_only
        .address_space:  global
        .offset:         48
        .size:           8
        .value_kind:     global_buffer
      - .offset:         56
        .size:           4
        .value_kind:     by_value
      - .offset:         60
        .size:           4
        .value_kind:     by_value
      - .offset:         64
        .size:           4
        .value_kind:     hidden_block_count_x
      - .offset:         68
        .size:           4
        .value_kind:     hidden_block_count_y
      - .offset:         72
        .size:           4
        .value_kind:     hidden_block_count_z
      - .offset:         76
        .size:           2
        .value_kind:     hidden_group_size_x
      - .offset:         78
        .size:           2
        .value_kind:     hidden_group_size_y
      - .offset:         80
        .size:           2
        .value_kind:     hidden_group_size_z
      - .offset:         82
        .size:           2
        .value_kind:     hidden_remainder_x
      - .offset:         84
        .size:           2
        .value_kind:     hidden_remainder_y
      - .offset:         86
        .size:           2
        .value_kind:     hidden_remainder_z
      - .offset:         104
        .size:           8
        .value_kind:     hidden_global_offset_x
      - .offset:         112
        .size:           8
        .value_kind:     hidden_global_offset_y
      - .offset:         120
        .size:           8
        .value_kind:     hidden_global_offset_z
      - .offset:         128
        .size:           2
        .value_kind:     hidden_grid_dims
      - .offset:         144
        .size:           8
        .value_kind:     hidden_hostcall_buffer
    .group_segment_fixed_size: 0
    .kernarg_segment_align: 8
    .kernarg_segment_size: 320
    .language:       OpenCL C
    .language_version:
      - 2
      - 0
    .max_flat_workgroup_size: 1024
    .name:           _Z17wvSplitKQ_hf_sml_I14__hip_bfloat16N3c1015Float8_e4m3fnuzELi64ELi4ELi16ELi16ELi1ELi3EEviiiPKT0_S5_PT_PKfS9_ii
    .private_segment_fixed_size: 64
    .sgpr_count:     40
    .sgpr_spill_count: 0
    .symbol:         _Z17wvSplitKQ_hf_sml_I14__hip_bfloat16N3c1015Float8_e4m3fnuzELi64ELi4ELi16ELi16ELi1ELi3EEviiiPKT0_S5_PT_PKfS9_ii.kd
    .uniform_work_group_size: 1
    .uses_dynamic_stack: false
    .vgpr_count:     49
    .vgpr_spill_count: 0
    .wavefront_size: 64
  - .agpr_count:     0
    .args:
      - .offset:         0
        .size:           4
        .value_kind:     by_value
      - .offset:         4
        .size:           4
        .value_kind:     by_value
      - .offset:         8
        .size:           4
        .value_kind:     by_value
      - .address_space:  global
        .offset:         16
        .size:           8
        .value_kind:     global_buffer
      - .actual_access:  read_only
        .address_space:  global
        .offset:         24
        .size:           8
        .value_kind:     global_buffer
      - .address_space:  global
        .offset:         32
        .size:           8
        .value_kind:     global_buffer
      - .actual_access:  read_only
        .address_space:  global
        .offset:         40
        .size:           8
        .value_kind:     global_buffer
      - .actual_access:  read_only
        .address_space:  global
        .offset:         48
        .size:           8
        .value_kind:     global_buffer
      - .offset:         56
        .size:           4
        .value_kind:     by_value
      - .offset:         60
        .size:           4
        .value_kind:     by_value
      - .offset:         64
        .size:           4
        .value_kind:     hidden_block_count_x
      - .offset:         68
        .size:           4
        .value_kind:     hidden_block_count_y
      - .offset:         72
        .size:           4
        .value_kind:     hidden_block_count_z
      - .offset:         76
        .size:           2
        .value_kind:     hidden_group_size_x
      - .offset:         78
        .size:           2
        .value_kind:     hidden_group_size_y
      - .offset:         80
        .size:           2
        .value_kind:     hidden_group_size_z
      - .offset:         82
        .size:           2
        .value_kind:     hidden_remainder_x
      - .offset:         84
        .size:           2
        .value_kind:     hidden_remainder_y
      - .offset:         86
        .size:           2
        .value_kind:     hidden_remainder_z
      - .offset:         104
        .size:           8
        .value_kind:     hidden_global_offset_x
      - .offset:         112
        .size:           8
        .value_kind:     hidden_global_offset_y
      - .offset:         120
        .size:           8
        .value_kind:     hidden_global_offset_z
      - .offset:         128
        .size:           2
        .value_kind:     hidden_grid_dims
      - .offset:         144
        .size:           8
        .value_kind:     hidden_hostcall_buffer
    .group_segment_fixed_size: 0
    .kernarg_segment_align: 8
    .kernarg_segment_size: 320
    .language:       OpenCL C
    .language_version:
      - 2
      - 0
    .max_flat_workgroup_size: 1024
    .name:           _Z13wvSplitKQ_hf_I14__hip_bfloat16N3c1015Float8_e4m3fnuzELi64ELi7ELi16ELi16ELi1ELi3EEviiiPKT0_S5_PT_PKfS9_ii
    .private_segment_fixed_size: 64
    .sgpr_count:     40
    .sgpr_spill_count: 0
    .symbol:         _Z13wvSplitKQ_hf_I14__hip_bfloat16N3c1015Float8_e4m3fnuzELi64ELi7ELi16ELi16ELi1ELi3EEviiiPKT0_S5_PT_PKfS9_ii.kd
    .uniform_work_group_size: 1
    .uses_dynamic_stack: false
    .vgpr_count:     49
    .vgpr_spill_count: 0
    .wavefront_size: 64
  - .agpr_count:     0
    .args:
      - .offset:         0
        .size:           4
        .value_kind:     by_value
      - .offset:         4
        .size:           4
        .value_kind:     by_value
      - .offset:         8
        .size:           4
        .value_kind:     by_value
      - .address_space:  global
        .offset:         16
        .size:           8
        .value_kind:     global_buffer
      - .actual_access:  read_only
        .address_space:  global
        .offset:         24
        .size:           8
        .value_kind:     global_buffer
      - .address_space:  global
        .offset:         32
        .size:           8
        .value_kind:     global_buffer
      - .actual_access:  read_only
        .address_space:  global
        .offset:         40
        .size:           8
        .value_kind:     global_buffer
      - .actual_access:  read_only
        .address_space:  global
        .offset:         48
        .size:           8
        .value_kind:     global_buffer
      - .offset:         56
        .size:           4
        .value_kind:     by_value
      - .offset:         60
        .size:           4
        .value_kind:     by_value
      - .offset:         64
        .size:           4
        .value_kind:     hidden_block_count_x
      - .offset:         68
        .size:           4
        .value_kind:     hidden_block_count_y
      - .offset:         72
        .size:           4
        .value_kind:     hidden_block_count_z
      - .offset:         76
        .size:           2
        .value_kind:     hidden_group_size_x
      - .offset:         78
        .size:           2
        .value_kind:     hidden_group_size_y
      - .offset:         80
        .size:           2
        .value_kind:     hidden_group_size_z
      - .offset:         82
        .size:           2
        .value_kind:     hidden_remainder_x
      - .offset:         84
        .size:           2
        .value_kind:     hidden_remainder_y
      - .offset:         86
        .size:           2
        .value_kind:     hidden_remainder_z
      - .offset:         104
        .size:           8
        .value_kind:     hidden_global_offset_x
      - .offset:         112
        .size:           8
        .value_kind:     hidden_global_offset_y
      - .offset:         120
        .size:           8
        .value_kind:     hidden_global_offset_z
      - .offset:         128
        .size:           2
        .value_kind:     hidden_grid_dims
      - .offset:         144
        .size:           8
        .value_kind:     hidden_hostcall_buffer
    .group_segment_fixed_size: 0
    .kernarg_segment_align: 8
    .kernarg_segment_size: 320
    .language:       OpenCL C
    .language_version:
      - 2
      - 0
    .max_flat_workgroup_size: 1024
    .name:           _Z17wvSplitKQ_hf_sml_I14__hip_bfloat16N3c1015Float8_e4m3fnuzELi64ELi4ELi16ELi16ELi1ELi4EEviiiPKT0_S5_PT_PKfS9_ii
    .private_segment_fixed_size: 64
    .sgpr_count:     40
    .sgpr_spill_count: 0
    .symbol:         _Z17wvSplitKQ_hf_sml_I14__hip_bfloat16N3c1015Float8_e4m3fnuzELi64ELi4ELi16ELi16ELi1ELi4EEviiiPKT0_S5_PT_PKfS9_ii.kd
    .uniform_work_group_size: 1
    .uses_dynamic_stack: false
    .vgpr_count:     49
    .vgpr_spill_count: 0
    .wavefront_size: 64
  - .agpr_count:     0
    .args:
      - .offset:         0
        .size:           4
        .value_kind:     by_value
      - .offset:         4
        .size:           4
        .value_kind:     by_value
      - .offset:         8
        .size:           4
        .value_kind:     by_value
      - .address_space:  global
        .offset:         16
        .size:           8
        .value_kind:     global_buffer
      - .actual_access:  read_only
        .address_space:  global
        .offset:         24
        .size:           8
        .value_kind:     global_buffer
      - .address_space:  global
        .offset:         32
        .size:           8
        .value_kind:     global_buffer
      - .actual_access:  read_only
        .address_space:  global
        .offset:         40
        .size:           8
        .value_kind:     global_buffer
      - .actual_access:  read_only
        .address_space:  global
        .offset:         48
        .size:           8
        .value_kind:     global_buffer
      - .offset:         56
        .size:           4
        .value_kind:     by_value
      - .offset:         60
        .size:           4
        .value_kind:     by_value
      - .offset:         64
        .size:           4
        .value_kind:     hidden_block_count_x
      - .offset:         68
        .size:           4
        .value_kind:     hidden_block_count_y
      - .offset:         72
        .size:           4
        .value_kind:     hidden_block_count_z
      - .offset:         76
        .size:           2
        .value_kind:     hidden_group_size_x
      - .offset:         78
        .size:           2
        .value_kind:     hidden_group_size_y
      - .offset:         80
        .size:           2
        .value_kind:     hidden_group_size_z
      - .offset:         82
        .size:           2
        .value_kind:     hidden_remainder_x
      - .offset:         84
        .size:           2
        .value_kind:     hidden_remainder_y
      - .offset:         86
        .size:           2
        .value_kind:     hidden_remainder_z
      - .offset:         104
        .size:           8
        .value_kind:     hidden_global_offset_x
      - .offset:         112
        .size:           8
        .value_kind:     hidden_global_offset_y
      - .offset:         120
        .size:           8
        .value_kind:     hidden_global_offset_z
      - .offset:         128
        .size:           2
        .value_kind:     hidden_grid_dims
      - .offset:         144
        .size:           8
        .value_kind:     hidden_hostcall_buffer
    .group_segment_fixed_size: 0
    .kernarg_segment_align: 8
    .kernarg_segment_size: 320
    .language:       OpenCL C
    .language_version:
      - 2
      - 0
    .max_flat_workgroup_size: 1024
    .name:           _Z13wvSplitKQ_hf_I14__hip_bfloat16N3c1015Float8_e4m3fnuzELi64ELi7ELi16ELi16ELi1ELi4EEviiiPKT0_S5_PT_PKfS9_ii
    .private_segment_fixed_size: 64
    .sgpr_count:     40
    .sgpr_spill_count: 0
    .symbol:         _Z13wvSplitKQ_hf_I14__hip_bfloat16N3c1015Float8_e4m3fnuzELi64ELi7ELi16ELi16ELi1ELi4EEviiiPKT0_S5_PT_PKfS9_ii.kd
    .uniform_work_group_size: 1
    .uses_dynamic_stack: false
    .vgpr_count:     49
    .vgpr_spill_count: 0
    .wavefront_size: 64
amdhsa.target:   amdgcn-amd-amdhsa--gfx90a
amdhsa.version:
  - 1
  - 2
...

	.end_amdgpu_metadata
